;; amdgpu-corpus repo=ROCm/rocFFT kind=compiled arch=gfx906 opt=O3
	.text
	.amdgcn_target "amdgcn-amd-amdhsa--gfx906"
	.amdhsa_code_object_version 6
	.protected	fft_rtc_back_len4000_factors_10_10_10_4_wgs_200_tpt_200_halfLds_dp_ip_CI_sbrr_dirReg ; -- Begin function fft_rtc_back_len4000_factors_10_10_10_4_wgs_200_tpt_200_halfLds_dp_ip_CI_sbrr_dirReg
	.globl	fft_rtc_back_len4000_factors_10_10_10_4_wgs_200_tpt_200_halfLds_dp_ip_CI_sbrr_dirReg
	.p2align	8
	.type	fft_rtc_back_len4000_factors_10_10_10_4_wgs_200_tpt_200_halfLds_dp_ip_CI_sbrr_dirReg,@function
fft_rtc_back_len4000_factors_10_10_10_4_wgs_200_tpt_200_halfLds_dp_ip_CI_sbrr_dirReg: ; @fft_rtc_back_len4000_factors_10_10_10_4_wgs_200_tpt_200_halfLds_dp_ip_CI_sbrr_dirReg
; %bb.0:
	s_load_dwordx2 s[14:15], s[4:5], 0x18
	s_load_dwordx4 s[8:11], s[4:5], 0x0
	s_load_dwordx2 s[12:13], s[4:5], 0x50
	v_mul_u32_u24_e32 v1, 0x148, v0
	v_add_u32_sdwa v5, s6, v1 dst_sel:DWORD dst_unused:UNUSED_PAD src0_sel:DWORD src1_sel:WORD_1
	s_waitcnt lgkmcnt(0)
	s_load_dwordx2 s[2:3], s[14:15], 0x0
	v_cmp_lt_u64_e64 s[0:1], s[10:11], 2
	v_mov_b32_e32 v3, 0
	v_mov_b32_e32 v1, 0
	;; [unrolled: 1-line block ×3, first 2 shown]
	s_and_b64 vcc, exec, s[0:1]
	v_mov_b32_e32 v2, 0
	s_cbranch_vccnz .LBB0_8
; %bb.1:
	s_load_dwordx2 s[0:1], s[4:5], 0x10
	s_add_u32 s6, s14, 8
	s_addc_u32 s7, s15, 0
	v_mov_b32_e32 v1, 0
	v_mov_b32_e32 v2, 0
	s_waitcnt lgkmcnt(0)
	s_add_u32 s16, s0, 8
	s_addc_u32 s17, s1, 0
	s_mov_b64 s[18:19], 1
.LBB0_2:                                ; =>This Inner Loop Header: Depth=1
	s_load_dwordx2 s[20:21], s[16:17], 0x0
                                        ; implicit-def: $vgpr7_vgpr8
	s_waitcnt lgkmcnt(0)
	v_or_b32_e32 v4, s21, v6
	v_cmp_ne_u64_e32 vcc, 0, v[3:4]
	s_and_saveexec_b64 s[0:1], vcc
	s_xor_b64 s[22:23], exec, s[0:1]
	s_cbranch_execz .LBB0_4
; %bb.3:                                ;   in Loop: Header=BB0_2 Depth=1
	v_cvt_f32_u32_e32 v4, s20
	v_cvt_f32_u32_e32 v7, s21
	s_sub_u32 s0, 0, s20
	s_subb_u32 s1, 0, s21
	v_mac_f32_e32 v4, 0x4f800000, v7
	v_rcp_f32_e32 v4, v4
	v_mul_f32_e32 v4, 0x5f7ffffc, v4
	v_mul_f32_e32 v7, 0x2f800000, v4
	v_trunc_f32_e32 v7, v7
	v_mac_f32_e32 v4, 0xcf800000, v7
	v_cvt_u32_f32_e32 v7, v7
	v_cvt_u32_f32_e32 v4, v4
	v_mul_lo_u32 v8, s0, v7
	v_mul_hi_u32 v9, s0, v4
	v_mul_lo_u32 v11, s1, v4
	v_mul_lo_u32 v10, s0, v4
	v_add_u32_e32 v8, v9, v8
	v_add_u32_e32 v8, v8, v11
	v_mul_hi_u32 v9, v4, v10
	v_mul_lo_u32 v11, v4, v8
	v_mul_hi_u32 v13, v4, v8
	v_mul_hi_u32 v12, v7, v10
	v_mul_lo_u32 v10, v7, v10
	v_mul_hi_u32 v14, v7, v8
	v_add_co_u32_e32 v9, vcc, v9, v11
	v_addc_co_u32_e32 v11, vcc, 0, v13, vcc
	v_mul_lo_u32 v8, v7, v8
	v_add_co_u32_e32 v9, vcc, v9, v10
	v_addc_co_u32_e32 v9, vcc, v11, v12, vcc
	v_addc_co_u32_e32 v10, vcc, 0, v14, vcc
	v_add_co_u32_e32 v8, vcc, v9, v8
	v_addc_co_u32_e32 v9, vcc, 0, v10, vcc
	v_add_co_u32_e32 v4, vcc, v4, v8
	v_addc_co_u32_e32 v7, vcc, v7, v9, vcc
	v_mul_lo_u32 v8, s0, v7
	v_mul_hi_u32 v9, s0, v4
	v_mul_lo_u32 v10, s1, v4
	v_mul_lo_u32 v11, s0, v4
	v_add_u32_e32 v8, v9, v8
	v_add_u32_e32 v8, v8, v10
	v_mul_lo_u32 v12, v4, v8
	v_mul_hi_u32 v13, v4, v11
	v_mul_hi_u32 v14, v4, v8
	;; [unrolled: 1-line block ×3, first 2 shown]
	v_mul_lo_u32 v11, v7, v11
	v_mul_hi_u32 v9, v7, v8
	v_add_co_u32_e32 v12, vcc, v13, v12
	v_addc_co_u32_e32 v13, vcc, 0, v14, vcc
	v_mul_lo_u32 v8, v7, v8
	v_add_co_u32_e32 v11, vcc, v12, v11
	v_addc_co_u32_e32 v10, vcc, v13, v10, vcc
	v_addc_co_u32_e32 v9, vcc, 0, v9, vcc
	v_add_co_u32_e32 v8, vcc, v10, v8
	v_addc_co_u32_e32 v9, vcc, 0, v9, vcc
	v_add_co_u32_e32 v4, vcc, v4, v8
	v_addc_co_u32_e32 v9, vcc, v7, v9, vcc
	v_mad_u64_u32 v[7:8], s[0:1], v5, v9, 0
	v_mul_hi_u32 v10, v5, v4
	v_add_co_u32_e32 v11, vcc, v10, v7
	v_addc_co_u32_e32 v12, vcc, 0, v8, vcc
	v_mad_u64_u32 v[7:8], s[0:1], v6, v4, 0
	v_mad_u64_u32 v[9:10], s[0:1], v6, v9, 0
	v_add_co_u32_e32 v4, vcc, v11, v7
	v_addc_co_u32_e32 v4, vcc, v12, v8, vcc
	v_addc_co_u32_e32 v7, vcc, 0, v10, vcc
	v_add_co_u32_e32 v4, vcc, v4, v9
	v_addc_co_u32_e32 v9, vcc, 0, v7, vcc
	v_mul_lo_u32 v10, s21, v4
	v_mul_lo_u32 v11, s20, v9
	v_mad_u64_u32 v[7:8], s[0:1], s20, v4, 0
	v_add3_u32 v8, v8, v11, v10
	v_sub_u32_e32 v10, v6, v8
	v_mov_b32_e32 v11, s21
	v_sub_co_u32_e32 v7, vcc, v5, v7
	v_subb_co_u32_e64 v10, s[0:1], v10, v11, vcc
	v_subrev_co_u32_e64 v11, s[0:1], s20, v7
	v_subbrev_co_u32_e64 v10, s[0:1], 0, v10, s[0:1]
	v_cmp_le_u32_e64 s[0:1], s21, v10
	v_cndmask_b32_e64 v12, 0, -1, s[0:1]
	v_cmp_le_u32_e64 s[0:1], s20, v11
	v_cndmask_b32_e64 v11, 0, -1, s[0:1]
	v_cmp_eq_u32_e64 s[0:1], s21, v10
	v_cndmask_b32_e64 v10, v12, v11, s[0:1]
	v_add_co_u32_e64 v11, s[0:1], 2, v4
	v_addc_co_u32_e64 v12, s[0:1], 0, v9, s[0:1]
	v_add_co_u32_e64 v13, s[0:1], 1, v4
	v_addc_co_u32_e64 v14, s[0:1], 0, v9, s[0:1]
	v_subb_co_u32_e32 v8, vcc, v6, v8, vcc
	v_cmp_ne_u32_e64 s[0:1], 0, v10
	v_cmp_le_u32_e32 vcc, s21, v8
	v_cndmask_b32_e64 v10, v14, v12, s[0:1]
	v_cndmask_b32_e64 v12, 0, -1, vcc
	v_cmp_le_u32_e32 vcc, s20, v7
	v_cndmask_b32_e64 v7, 0, -1, vcc
	v_cmp_eq_u32_e32 vcc, s21, v8
	v_cndmask_b32_e32 v7, v12, v7, vcc
	v_cmp_ne_u32_e32 vcc, 0, v7
	v_cndmask_b32_e64 v7, v13, v11, s[0:1]
	v_cndmask_b32_e32 v8, v9, v10, vcc
	v_cndmask_b32_e32 v7, v4, v7, vcc
.LBB0_4:                                ;   in Loop: Header=BB0_2 Depth=1
	s_andn2_saveexec_b64 s[0:1], s[22:23]
	s_cbranch_execz .LBB0_6
; %bb.5:                                ;   in Loop: Header=BB0_2 Depth=1
	v_cvt_f32_u32_e32 v4, s20
	s_sub_i32 s22, 0, s20
	v_rcp_iflag_f32_e32 v4, v4
	v_mul_f32_e32 v4, 0x4f7ffffe, v4
	v_cvt_u32_f32_e32 v4, v4
	v_mul_lo_u32 v7, s22, v4
	v_mul_hi_u32 v7, v4, v7
	v_add_u32_e32 v4, v4, v7
	v_mul_hi_u32 v4, v5, v4
	v_mul_lo_u32 v7, v4, s20
	v_add_u32_e32 v8, 1, v4
	v_sub_u32_e32 v7, v5, v7
	v_subrev_u32_e32 v9, s20, v7
	v_cmp_le_u32_e32 vcc, s20, v7
	v_cndmask_b32_e32 v7, v7, v9, vcc
	v_cndmask_b32_e32 v4, v4, v8, vcc
	v_add_u32_e32 v8, 1, v4
	v_cmp_le_u32_e32 vcc, s20, v7
	v_cndmask_b32_e32 v7, v4, v8, vcc
	v_mov_b32_e32 v8, v3
.LBB0_6:                                ;   in Loop: Header=BB0_2 Depth=1
	s_or_b64 exec, exec, s[0:1]
	v_mul_lo_u32 v4, v8, s20
	v_mul_lo_u32 v11, v7, s21
	v_mad_u64_u32 v[9:10], s[0:1], v7, s20, 0
	s_load_dwordx2 s[0:1], s[6:7], 0x0
	s_add_u32 s18, s18, 1
	v_add3_u32 v4, v10, v11, v4
	v_sub_co_u32_e32 v5, vcc, v5, v9
	v_subb_co_u32_e32 v4, vcc, v6, v4, vcc
	s_waitcnt lgkmcnt(0)
	v_mul_lo_u32 v4, s0, v4
	v_mul_lo_u32 v6, s1, v5
	v_mad_u64_u32 v[1:2], s[0:1], s0, v5, v[1:2]
	s_addc_u32 s19, s19, 0
	s_add_u32 s6, s6, 8
	v_add3_u32 v2, v6, v2, v4
	v_mov_b32_e32 v4, s10
	v_mov_b32_e32 v5, s11
	s_addc_u32 s7, s7, 0
	v_cmp_ge_u64_e32 vcc, s[18:19], v[4:5]
	s_add_u32 s16, s16, 8
	s_addc_u32 s17, s17, 0
	s_cbranch_vccnz .LBB0_9
; %bb.7:                                ;   in Loop: Header=BB0_2 Depth=1
	v_mov_b32_e32 v5, v7
	v_mov_b32_e32 v6, v8
	s_branch .LBB0_2
.LBB0_8:
	v_mov_b32_e32 v8, v6
	v_mov_b32_e32 v7, v5
.LBB0_9:
	s_lshl_b64 s[0:1], s[10:11], 3
	s_add_u32 s0, s14, s0
	s_addc_u32 s1, s15, s1
	s_load_dwordx2 s[6:7], s[0:1], 0x0
	s_load_dwordx2 s[10:11], s[4:5], 0x20
                                        ; implicit-def: $vgpr84
                                        ; implicit-def: $vgpr83
                                        ; implicit-def: $vgpr85
                                        ; implicit-def: $vgpr86
	s_waitcnt lgkmcnt(0)
	v_mad_u64_u32 v[1:2], s[0:1], s6, v7, v[1:2]
	s_mov_b32 s0, 0x147ae15
	v_mul_lo_u32 v3, s6, v8
	v_mul_lo_u32 v4, s7, v7
	v_mul_hi_u32 v5, v0, s0
	v_cmp_gt_u64_e32 vcc, s[10:11], v[7:8]
	v_cmp_le_u64_e64 s[0:1], s[10:11], v[7:8]
	v_add3_u32 v2, v4, v2, v3
	v_mul_u32_u24_e32 v3, 0xc8, v5
	v_sub_u32_e32 v82, v0, v3
	s_and_saveexec_b64 s[4:5], s[0:1]
	s_xor_b64 s[0:1], exec, s[4:5]
; %bb.10:
	v_add_u32_e32 v84, 0xc8, v82
	v_add_u32_e32 v83, 0x190, v82
	;; [unrolled: 1-line block ×4, first 2 shown]
; %bb.11:
	s_or_saveexec_b64 s[4:5], s[0:1]
	v_lshlrev_b64 v[80:81], 4, v[1:2]
                                        ; implicit-def: $vgpr50_vgpr51
                                        ; implicit-def: $vgpr62_vgpr63
                                        ; implicit-def: $vgpr46_vgpr47
                                        ; implicit-def: $vgpr66_vgpr67
                                        ; implicit-def: $vgpr42_vgpr43
                                        ; implicit-def: $vgpr26_vgpr27
                                        ; implicit-def: $vgpr6_vgpr7
                                        ; implicit-def: $vgpr22_vgpr23
                                        ; implicit-def: $vgpr10_vgpr11
                                        ; implicit-def: $vgpr38_vgpr39
                                        ; implicit-def: $vgpr2_vgpr3
                                        ; implicit-def: $vgpr34_vgpr35
                                        ; implicit-def: $vgpr18_vgpr19
                                        ; implicit-def: $vgpr30_vgpr31
                                        ; implicit-def: $vgpr14_vgpr15
                                        ; implicit-def: $vgpr70_vgpr71
                                        ; implicit-def: $vgpr54_vgpr55
                                        ; implicit-def: $vgpr74_vgpr75
                                        ; implicit-def: $vgpr58_vgpr59
                                        ; implicit-def: $vgpr78_vgpr79
	s_xor_b64 exec, exec, s[4:5]
	s_cbranch_execz .LBB0_13
; %bb.12:
	v_mad_u64_u32 v[0:1], s[0:1], s2, v82, 0
	v_add_u32_e32 v83, 0x190, v82
	v_mov_b32_e32 v4, s13
	v_mad_u64_u32 v[1:2], s[0:1], s3, v82, v[1:2]
	v_mad_u64_u32 v[2:3], s[0:1], s2, v83, 0
	v_add_co_u32_e64 v14, s[0:1], s12, v80
	v_addc_co_u32_e64 v15, s[0:1], v4, v81, s[0:1]
	v_mad_u64_u32 v[3:4], s[0:1], s3, v83, v[3:4]
	v_add_u32_e32 v85, 0x320, v82
	v_mad_u64_u32 v[4:5], s[0:1], s2, v85, 0
	v_lshlrev_b64 v[0:1], 4, v[0:1]
	v_add_u32_e32 v8, 0x4b0, v82
	v_add_co_u32_e64 v0, s[0:1], v14, v0
	v_addc_co_u32_e64 v1, s[0:1], v15, v1, s[0:1]
	v_mad_u64_u32 v[5:6], s[0:1], s3, v85, v[5:6]
	v_mad_u64_u32 v[6:7], s[0:1], s2, v8, 0
	v_lshlrev_b64 v[2:3], 4, v[2:3]
	v_add_u32_e32 v12, 0x640, v82
	v_add_co_u32_e64 v2, s[0:1], v14, v2
	v_addc_co_u32_e64 v3, s[0:1], v15, v3, s[0:1]
	v_mad_u64_u32 v[7:8], s[0:1], s3, v8, v[7:8]
	v_mad_u64_u32 v[8:9], s[0:1], s2, v12, 0
	v_lshlrev_b64 v[4:5], 4, v[4:5]
	v_add_u32_e32 v84, 0xc8, v82
	v_add_co_u32_e64 v10, s[0:1], v14, v4
	v_addc_co_u32_e64 v11, s[0:1], v15, v5, s[0:1]
	v_lshlrev_b64 v[4:5], 4, v[6:7]
	v_mov_b32_e32 v6, v9
	v_mad_u64_u32 v[6:7], s[0:1], s3, v12, v[6:7]
	v_add_u32_e32 v7, 0x7d0, v82
	v_mad_u64_u32 v[12:13], s[0:1], s2, v7, 0
	v_add_co_u32_e64 v16, s[0:1], v14, v4
	v_mov_b32_e32 v9, v6
	v_mov_b32_e32 v6, v13
	v_addc_co_u32_e64 v17, s[0:1], v15, v5, s[0:1]
	v_lshlrev_b64 v[4:5], 4, v[8:9]
	v_mad_u64_u32 v[6:7], s[0:1], s3, v7, v[6:7]
	v_add_u32_e32 v9, 0x960, v82
	v_mad_u64_u32 v[7:8], s[0:1], s2, v9, 0
	v_add_co_u32_e64 v18, s[0:1], v14, v4
	v_mov_b32_e32 v13, v6
	v_mov_b32_e32 v6, v8
	v_addc_co_u32_e64 v19, s[0:1], v15, v5, s[0:1]
	v_mad_u64_u32 v[8:9], s[0:1], s3, v9, v[6:7]
	v_add_u32_e32 v9, 0xaf0, v82
	v_lshlrev_b64 v[4:5], 4, v[12:13]
	v_mad_u64_u32 v[12:13], s[0:1], s2, v9, 0
	v_add_co_u32_e64 v32, s[0:1], v14, v4
	v_mov_b32_e32 v6, v13
	v_addc_co_u32_e64 v33, s[0:1], v15, v5, s[0:1]
	v_lshlrev_b64 v[4:5], 4, v[7:8]
	v_mad_u64_u32 v[6:7], s[0:1], s3, v9, v[6:7]
	v_add_u32_e32 v9, 0xc80, v82
	v_mad_u64_u32 v[7:8], s[0:1], s2, v9, 0
	v_add_co_u32_e64 v34, s[0:1], v14, v4
	v_mov_b32_e32 v13, v6
	v_mov_b32_e32 v6, v8
	v_addc_co_u32_e64 v35, s[0:1], v15, v5, s[0:1]
	v_mad_u64_u32 v[8:9], s[0:1], s3, v9, v[6:7]
	v_add_u32_e32 v9, 0xe10, v82
	v_lshlrev_b64 v[4:5], 4, v[12:13]
	v_mad_u64_u32 v[12:13], s[0:1], s2, v9, 0
	v_add_co_u32_e64 v36, s[0:1], v14, v4
	v_mov_b32_e32 v6, v13
	v_addc_co_u32_e64 v37, s[0:1], v15, v5, s[0:1]
	v_lshlrev_b64 v[4:5], 4, v[7:8]
	v_mad_u64_u32 v[6:7], s[0:1], s3, v9, v[6:7]
	v_mad_u64_u32 v[7:8], s[0:1], s2, v84, 0
	v_add_co_u32_e64 v38, s[0:1], v14, v4
	v_mov_b32_e32 v13, v6
	v_add_u32_e32 v86, 0x258, v82
	v_addc_co_u32_e64 v39, s[0:1], v15, v5, s[0:1]
	v_lshlrev_b64 v[4:5], 4, v[12:13]
	v_mov_b32_e32 v6, v8
	v_mad_u64_u32 v[12:13], s[0:1], s2, v86, 0
	v_mad_u64_u32 v[8:9], s[0:1], s3, v84, v[6:7]
	v_add_co_u32_e64 v87, s[0:1], v14, v4
	v_mov_b32_e32 v6, v13
	v_addc_co_u32_e64 v88, s[0:1], v15, v5, s[0:1]
	v_lshlrev_b64 v[4:5], 4, v[7:8]
	v_mad_u64_u32 v[6:7], s[0:1], s3, v86, v[6:7]
	v_add_u32_e32 v9, 0x3e8, v82
	v_mad_u64_u32 v[7:8], s[0:1], s2, v9, 0
	v_add_co_u32_e64 v89, s[0:1], v14, v4
	v_mov_b32_e32 v13, v6
	v_mov_b32_e32 v6, v8
	v_addc_co_u32_e64 v90, s[0:1], v15, v5, s[0:1]
	v_mad_u64_u32 v[8:9], s[0:1], s3, v9, v[6:7]
	v_add_u32_e32 v9, 0x578, v82
	v_lshlrev_b64 v[4:5], 4, v[12:13]
	v_mad_u64_u32 v[12:13], s[0:1], s2, v9, 0
	v_add_co_u32_e64 v91, s[0:1], v14, v4
	v_mov_b32_e32 v6, v13
	v_addc_co_u32_e64 v92, s[0:1], v15, v5, s[0:1]
	v_lshlrev_b64 v[4:5], 4, v[7:8]
	v_mad_u64_u32 v[6:7], s[0:1], s3, v9, v[6:7]
	v_add_u32_e32 v9, 0x708, v82
	v_mad_u64_u32 v[7:8], s[0:1], s2, v9, 0
	v_add_co_u32_e64 v93, s[0:1], v14, v4
	v_mov_b32_e32 v13, v6
	v_mov_b32_e32 v6, v8
	v_addc_co_u32_e64 v94, s[0:1], v15, v5, s[0:1]
	v_mad_u64_u32 v[8:9], s[0:1], s3, v9, v[6:7]
	v_add_u32_e32 v9, 0x898, v82
	v_lshlrev_b64 v[4:5], 4, v[12:13]
	;; [unrolled: 15-line block ×4, first 2 shown]
	v_mad_u64_u32 v[12:13], s[0:1], s2, v9, 0
	v_add_co_u32_e64 v103, s[0:1], v14, v4
	v_mov_b32_e32 v6, v13
	v_addc_co_u32_e64 v104, s[0:1], v15, v5, s[0:1]
	v_lshlrev_b64 v[4:5], 4, v[7:8]
	v_mad_u64_u32 v[6:7], s[0:1], s3, v9, v[6:7]
	v_add_co_u32_e64 v105, s[0:1], v14, v4
	v_mov_b32_e32 v13, v6
	v_addc_co_u32_e64 v106, s[0:1], v15, v5, s[0:1]
	v_lshlrev_b64 v[4:5], 4, v[12:13]
	v_add_co_u32_e64 v107, s[0:1], v14, v4
	v_addc_co_u32_e64 v108, s[0:1], v15, v5, s[0:1]
	global_load_dwordx4 v[76:79], v[0:1], off
	global_load_dwordx4 v[48:51], v[2:3], off
	;; [unrolled: 1-line block ×15, first 2 shown]
                                        ; kill: killed $vgpr87 killed $vgpr88
                                        ; kill: killed $vgpr10 killed $vgpr11
                                        ; kill: killed $vgpr16 killed $vgpr17
                                        ; kill: killed $vgpr18 killed $vgpr19
                                        ; kill: killed $vgpr91 killed $vgpr92
                                        ; kill: killed $vgpr2 killed $vgpr3
                                        ; kill: killed $vgpr32 killed $vgpr33
                                        ; kill: killed $vgpr93 killed $vgpr94
                                        ; kill: killed $vgpr34 killed $vgpr35
                                        ; kill: killed $vgpr95 killed $vgpr96
                                        ; kill: killed $vgpr89 killed $vgpr90
                                        ; kill: killed $vgpr0 killed $vgpr1
                                        ; kill: killed $vgpr36 killed $vgpr37
                                        ; kill: killed $vgpr97 killed $vgpr98
                                        ; kill: killed $vgpr38 killed $vgpr39
	global_load_dwordx4 v[16:19], v[99:100], off
	global_load_dwordx4 v[32:35], v[101:102], off
	;; [unrolled: 1-line block ×5, first 2 shown]
.LBB0_13:
	s_or_b64 exec, exec, s[4:5]
	s_waitcnt vmcnt(13)
	v_add_f64 v[89:90], v[64:65], v[72:73]
	v_add_f64 v[87:88], v[60:61], v[76:77]
	s_waitcnt vmcnt(11)
	v_add_f64 v[91:92], v[62:63], -v[70:71]
	s_mov_b32 s4, 0x134454ff
	s_mov_b32 s5, 0xbfee6f0e
	v_add_f64 v[93:94], v[74:75], -v[66:67]
	v_add_f64 v[95:96], v[60:61], -v[72:73]
	;; [unrolled: 1-line block ×3, first 2 shown]
	v_fma_f64 v[89:90], v[89:90], -0.5, v[76:77]
	v_add_f64 v[87:88], v[72:73], v[87:88]
	v_add_f64 v[99:100], v[60:61], v[68:69]
	s_mov_b32 s6, 0x4755a5e
	s_mov_b32 s7, 0xbfe2cf23
	s_mov_b32 s11, 0x3fee6f0e
	s_mov_b32 s10, s4
	v_add_f64 v[95:96], v[97:98], v[95:96]
	v_fma_f64 v[101:102], v[91:92], s[4:5], v[89:90]
	v_add_f64 v[87:88], v[64:65], v[87:88]
	v_fma_f64 v[89:90], v[91:92], s[10:11], v[89:90]
	v_fma_f64 v[76:77], v[99:100], -0.5, v[76:77]
	v_add_f64 v[99:100], v[66:67], v[74:75]
	s_mov_b32 s14, 0x372fe950
	s_mov_b32 s15, 0x3fd3c6ef
	;; [unrolled: 1-line block ×3, first 2 shown]
	v_fma_f64 v[97:98], v[93:94], s[6:7], v[101:102]
	s_mov_b32 s16, s6
	v_add_f64 v[87:88], v[68:69], v[87:88]
	v_fma_f64 v[89:90], v[93:94], s[16:17], v[89:90]
	v_fma_f64 v[101:102], v[93:94], s[10:11], v[76:77]
	v_add_f64 v[103:104], v[72:73], -v[60:61]
	v_add_f64 v[105:106], v[64:65], -v[68:69]
	v_fma_f64 v[76:77], v[93:94], s[4:5], v[76:77]
	v_add_f64 v[93:94], v[62:63], v[78:79]
	v_fma_f64 v[99:100], v[99:100], -0.5, v[78:79]
	v_add_f64 v[60:61], v[60:61], -v[68:69]
	v_fma_f64 v[68:69], v[95:96], s[14:15], v[97:98]
	v_add_f64 v[97:98], v[62:63], v[70:71]
	v_fma_f64 v[89:90], v[95:96], s[14:15], v[89:90]
	v_fma_f64 v[95:96], v[91:92], s[6:7], v[101:102]
	v_add_f64 v[101:102], v[105:106], v[103:104]
	v_fma_f64 v[76:77], v[91:92], s[16:17], v[76:77]
	v_add_f64 v[91:92], v[74:75], v[93:94]
	v_fma_f64 v[93:94], v[60:61], s[10:11], v[99:100]
	v_add_f64 v[64:65], v[72:73], -v[64:65]
	v_add_f64 v[72:73], v[62:63], -v[74:75]
	v_add_f64 v[103:104], v[70:71], -v[66:67]
	v_fma_f64 v[78:79], v[97:98], -0.5, v[78:79]
	v_fma_f64 v[97:98], v[60:61], s[4:5], v[99:100]
	v_add_f64 v[99:100], v[44:45], v[52:53]
	v_fma_f64 v[95:96], v[101:102], s[14:15], v[95:96]
	v_fma_f64 v[76:77], v[101:102], s[14:15], v[76:77]
	v_add_f64 v[91:92], v[66:67], v[91:92]
	v_fma_f64 v[93:94], v[64:65], s[16:17], v[93:94]
	v_add_f64 v[72:73], v[103:104], v[72:73]
	v_fma_f64 v[101:102], v[64:65], s[4:5], v[78:79]
	v_add_f64 v[62:63], v[74:75], -v[62:63]
	v_add_f64 v[66:67], v[66:67], -v[70:71]
	v_fma_f64 v[74:75], v[64:65], s[6:7], v[97:98]
	v_add_f64 v[97:98], v[48:49], v[56:57]
	v_fma_f64 v[99:100], v[99:100], -0.5, v[48:49]
	s_waitcnt vmcnt(10)
	v_add_f64 v[103:104], v[58:59], -v[42:43]
	v_add_f64 v[91:92], v[70:71], v[91:92]
	v_fma_f64 v[93:94], v[72:73], s[14:15], v[93:94]
	v_fma_f64 v[70:71], v[60:61], s[16:17], v[101:102]
	v_add_f64 v[62:63], v[66:67], v[62:63]
	v_fma_f64 v[101:102], v[72:73], s[14:15], v[74:75]
	v_fma_f64 v[64:65], v[64:65], s[10:11], v[78:79]
	v_add_f64 v[66:67], v[44:45], v[97:98]
	v_fma_f64 v[72:73], v[103:104], s[4:5], v[99:100]
	v_add_f64 v[74:75], v[46:47], -v[54:55]
	v_add_f64 v[78:79], v[56:57], -v[44:45]
	;; [unrolled: 1-line block ×3, first 2 shown]
	v_fma_f64 v[105:106], v[62:63], s[14:15], v[70:71]
	v_add_f64 v[70:71], v[40:41], v[56:57]
	v_add_f64 v[107:108], v[46:47], v[54:55]
	v_fma_f64 v[60:61], v[60:61], s[6:7], v[64:65]
	v_add_f64 v[64:65], v[52:53], v[66:67]
	v_fma_f64 v[66:67], v[74:75], s[6:7], v[72:73]
	v_add_f64 v[72:73], v[42:43], v[58:59]
	v_add_f64 v[78:79], v[97:98], v[78:79]
	v_fma_f64 v[97:98], v[103:104], s[10:11], v[99:100]
	v_fma_f64 v[48:49], v[70:71], -0.5, v[48:49]
	v_fma_f64 v[70:71], v[107:108], -0.5, v[50:51]
	v_add_f64 v[99:100], v[56:57], -v[40:41]
	v_fma_f64 v[107:108], v[62:63], s[14:15], v[60:61]
	v_add_f64 v[60:61], v[44:45], -v[52:53]
	v_fma_f64 v[62:63], v[72:73], -0.5, v[50:51]
	v_add_f64 v[111:112], v[58:59], -v[46:47]
	v_add_f64 v[113:114], v[42:43], -v[54:55]
	;; [unrolled: 1-line block ×4, first 2 shown]
	v_fma_f64 v[109:110], v[99:100], s[10:11], v[70:71]
	v_add_f64 v[50:51], v[50:51], v[58:59]
	v_add_f64 v[64:65], v[40:41], v[64:65]
	v_fma_f64 v[115:116], v[60:61], s[4:5], v[62:63]
	v_fma_f64 v[72:73], v[74:75], s[16:17], v[97:98]
	;; [unrolled: 1-line block ×3, first 2 shown]
	v_add_f64 v[44:45], v[44:45], -v[56:57]
	v_add_f64 v[40:41], v[52:53], -v[40:41]
	v_fma_f64 v[48:49], v[74:75], s[4:5], v[48:49]
	v_fma_f64 v[52:53], v[60:61], s[16:17], v[109:110]
	v_add_f64 v[56:57], v[113:114], v[111:112]
	v_fma_f64 v[58:59], v[99:100], s[16:17], v[115:116]
	v_add_f64 v[74:75], v[119:120], v[117:118]
	;; [unrolled: 2-line block ×4, first 2 shown]
	v_fma_f64 v[44:45], v[103:104], s[16:17], v[48:49]
	v_fma_f64 v[48:49], v[56:57], s[14:15], v[52:53]
	;; [unrolled: 1-line block ×5, first 2 shown]
	v_add_f64 v[46:47], v[54:55], v[46:47]
	v_fma_f64 v[50:51], v[60:61], s[6:7], v[50:51]
	v_fma_f64 v[54:55], v[78:79], s[14:15], v[72:73]
	;; [unrolled: 1-line block ×5, first 2 shown]
	v_mul_f64 v[44:45], v[48:49], s[6:7]
	v_fma_f64 v[58:59], v[74:75], s[14:15], v[58:59]
	v_add_f64 v[73:74], v[42:43], v[46:47]
	v_fma_f64 v[42:43], v[56:57], s[14:15], v[50:51]
	v_mul_f64 v[70:71], v[52:53], s[4:5]
	s_mov_b32 s20, 0x9b97f4a8
	s_mov_b32 s21, 0x3fe9e377
	;; [unrolled: 1-line block ×6, first 2 shown]
	v_mul_f64 v[46:47], v[42:43], s[6:7]
	v_fma_f64 v[78:79], v[66:67], s[20:21], v[44:45]
	v_fma_f64 v[70:71], v[60:61], s[14:15], v[70:71]
	v_mul_f64 v[44:45], v[58:59], s[4:5]
	v_mul_f64 v[48:49], v[48:49], s[20:21]
	;; [unrolled: 1-line block ×5, first 2 shown]
	v_fma_f64 v[99:100], v[54:55], s[22:23], v[46:47]
	s_waitcnt vmcnt(3)
	v_add_f64 v[115:116], v[20:21], v[32:33]
	v_add_f64 v[40:41], v[64:65], v[87:88]
	v_fma_f64 v[97:98], v[62:63], s[18:19], v[44:45]
	v_add_f64 v[42:43], v[68:69], v[78:79]
	v_fma_f64 v[103:104], v[66:67], s[16:17], v[48:49]
	;; [unrolled: 2-line block ×3, first 2 shown]
	v_fma_f64 v[113:114], v[54:55], s[16:17], v[58:59]
	v_add_f64 v[48:49], v[89:90], v[99:100]
	v_add_f64 v[50:51], v[87:88], -v[64:65]
	v_add_f64 v[65:66], v[68:69], -v[78:79]
	;; [unrolled: 1-line block ×3, first 2 shown]
	v_add_f64 v[78:79], v[24:25], v[28:29]
	v_fma_f64 v[87:88], v[115:116], -0.5, v[24:25]
	s_waitcnt vmcnt(1)
	v_add_f64 v[95:96], v[30:31], -v[38:39]
	v_add_f64 v[71:72], v[89:90], -v[99:100]
	v_add_f64 v[89:90], v[36:37], v[28:29]
	v_fma_f64 v[111:112], v[62:63], s[10:11], v[56:57]
	v_add_f64 v[46:47], v[76:77], v[97:98]
	v_add_f64 v[53:54], v[73:74], v[91:92]
	;; [unrolled: 1-line block ×4, first 2 shown]
	v_add_f64 v[69:70], v[76:77], -v[97:98]
	v_add_f64 v[63:64], v[91:92], -v[73:74]
	;; [unrolled: 1-line block ×3, first 2 shown]
	v_add_f64 v[77:78], v[20:21], v[78:79]
	v_fma_f64 v[91:92], v[95:96], s[4:5], v[87:88]
	v_add_f64 v[93:94], v[22:23], -v[34:35]
	v_add_f64 v[97:98], v[28:29], -v[20:21]
	;; [unrolled: 1-line block ×3, first 2 shown]
	v_fma_f64 v[103:104], v[95:96], s[10:11], v[87:88]
	v_fma_f64 v[24:25], v[89:90], -0.5, v[24:25]
	v_add_f64 v[89:90], v[101:102], -v[113:114]
	v_add_f64 v[101:102], v[22:23], v[34:35]
	v_add_f64 v[57:58], v[105:106], v[109:110]
	;; [unrolled: 1-line block ×3, first 2 shown]
	v_add_f64 v[75:76], v[105:106], -v[109:110]
	v_add_f64 v[87:88], v[107:108], -v[111:112]
	v_add_f64 v[77:78], v[32:33], v[77:78]
	v_fma_f64 v[91:92], v[93:94], s[6:7], v[91:92]
	v_add_f64 v[97:98], v[99:100], v[97:98]
	v_fma_f64 v[99:100], v[93:94], s[16:17], v[103:104]
	v_fma_f64 v[103:104], v[93:94], s[10:11], v[24:25]
	v_add_f64 v[105:106], v[20:21], -v[28:29]
	v_add_f64 v[107:108], v[32:33], -v[36:37]
	v_fma_f64 v[101:102], v[101:102], -0.5, v[26:27]
	v_add_f64 v[28:29], v[28:29], -v[36:37]
	v_add_f64 v[109:110], v[26:27], v[30:31]
	v_add_f64 v[36:37], v[36:37], v[77:78]
	v_fma_f64 v[77:78], v[97:98], s[14:15], v[91:92]
	v_fma_f64 v[91:92], v[97:98], s[14:15], v[99:100]
	;; [unrolled: 1-line block ×3, first 2 shown]
	v_add_f64 v[99:100], v[107:108], v[105:106]
	v_fma_f64 v[24:25], v[93:94], s[4:5], v[24:25]
	v_fma_f64 v[103:104], v[28:29], s[10:11], v[101:102]
	v_add_f64 v[20:21], v[20:21], -v[32:33]
	v_add_f64 v[32:33], v[30:31], -v[22:23]
	;; [unrolled: 1-line block ×3, first 2 shown]
	v_fma_f64 v[101:102], v[28:29], s[4:5], v[101:102]
	v_add_f64 v[107:108], v[38:39], v[30:31]
	v_add_f64 v[93:94], v[22:23], v[109:110]
	v_fma_f64 v[24:25], v[95:96], s[16:17], v[24:25]
	v_fma_f64 v[95:96], v[99:100], s[14:15], v[97:98]
	v_add_f64 v[97:98], v[8:9], v[16:17]
	v_fma_f64 v[103:104], v[20:21], s[16:17], v[103:104]
	v_add_f64 v[32:33], v[105:106], v[32:33]
	v_fma_f64 v[101:102], v[20:21], s[6:7], v[101:102]
	v_fma_f64 v[26:27], v[107:108], -0.5, v[26:27]
	v_add_f64 v[93:94], v[34:35], v[93:94]
	v_fma_f64 v[99:100], v[99:100], s[14:15], v[24:25]
	v_add_f64 v[24:25], v[4:5], v[12:13]
	v_fma_f64 v[97:98], v[97:98], -0.5, v[12:13]
	s_waitcnt vmcnt(0)
	v_add_f64 v[105:106], v[6:7], -v[2:3]
	v_fma_f64 v[103:104], v[32:33], s[14:15], v[103:104]
	v_fma_f64 v[101:102], v[32:33], s[14:15], v[101:102]
	;; [unrolled: 1-line block ×3, first 2 shown]
	v_add_f64 v[22:23], v[22:23], -v[30:31]
	v_add_f64 v[30:31], v[34:35], -v[38:39]
	v_add_f64 v[93:94], v[38:39], v[93:94]
	v_add_f64 v[38:39], v[4:5], v[0:1]
	v_fma_f64 v[20:21], v[20:21], s[10:11], v[26:27]
	v_add_f64 v[24:25], v[16:17], v[24:25]
	v_fma_f64 v[26:27], v[105:106], s[4:5], v[97:98]
	v_add_f64 v[34:35], v[18:19], -v[10:11]
	v_add_f64 v[107:108], v[4:5], -v[16:17]
	;; [unrolled: 1-line block ×3, first 2 shown]
	v_fma_f64 v[32:33], v[28:29], s[16:17], v[32:33]
	v_add_f64 v[22:23], v[30:31], v[22:23]
	v_add_f64 v[111:112], v[10:11], v[18:19]
	v_fma_f64 v[12:13], v[38:39], -0.5, v[12:13]
	v_fma_f64 v[20:21], v[28:29], s[6:7], v[20:21]
	v_add_f64 v[24:25], v[8:9], v[24:25]
	v_fma_f64 v[26:27], v[34:35], s[6:7], v[26:27]
	v_add_f64 v[28:29], v[109:110], v[107:108]
	v_add_f64 v[38:39], v[4:5], -v[0:1]
	v_fma_f64 v[107:108], v[22:23], s[14:15], v[32:33]
	v_add_f64 v[32:33], v[6:7], v[2:3]
	v_fma_f64 v[30:31], v[111:112], -0.5, v[14:15]
	v_fma_f64 v[97:98], v[105:106], s[10:11], v[97:98]
	v_fma_f64 v[109:110], v[34:35], s[10:11], v[12:13]
	;; [unrolled: 1-line block ×3, first 2 shown]
	v_add_f64 v[113:114], v[0:1], v[24:25]
	v_fma_f64 v[20:21], v[28:29], s[14:15], v[26:27]
	v_add_f64 v[24:25], v[16:17], -v[8:9]
	v_fma_f64 v[26:27], v[32:33], -0.5, v[14:15]
	v_fma_f64 v[22:23], v[38:39], s[10:11], v[30:31]
	v_fma_f64 v[32:33], v[34:35], s[16:17], v[97:98]
	;; [unrolled: 1-line block ×3, first 2 shown]
	v_add_f64 v[4:5], v[16:17], -v[4:5]
	v_add_f64 v[16:17], v[6:7], -v[18:19]
	;; [unrolled: 1-line block ×3, first 2 shown]
	v_add_f64 v[14:15], v[6:7], v[14:15]
	v_fma_f64 v[115:116], v[24:25], s[4:5], v[26:27]
	v_add_f64 v[6:7], v[18:19], -v[6:7]
	v_add_f64 v[117:118], v[10:11], -v[2:3]
	v_fma_f64 v[26:27], v[24:25], s[10:11], v[26:27]
	v_fma_f64 v[30:31], v[38:39], s[4:5], v[30:31]
	;; [unrolled: 1-line block ×3, first 2 shown]
	v_add_f64 v[16:17], v[109:110], v[16:17]
	v_add_f64 v[0:1], v[8:9], -v[0:1]
	v_fma_f64 v[8:9], v[34:35], s[4:5], v[12:13]
	v_add_f64 v[12:13], v[18:19], v[14:15]
	v_fma_f64 v[14:15], v[38:39], s[16:17], v[115:116]
	v_add_f64 v[6:7], v[117:118], v[6:7]
	v_fma_f64 v[18:19], v[38:39], s[6:7], v[26:27]
	v_fma_f64 v[24:25], v[24:25], s[6:7], v[30:31]
	;; [unrolled: 1-line block ×3, first 2 shown]
	v_add_f64 v[0:1], v[0:1], v[4:5]
	v_fma_f64 v[4:5], v[105:106], s[16:17], v[8:9]
	v_add_f64 v[8:9], v[10:11], v[12:13]
	v_fma_f64 v[10:11], v[28:29], s[14:15], v[32:33]
	v_fma_f64 v[12:13], v[6:7], s[14:15], v[14:15]
	v_fma_f64 v[6:7], v[6:7], s[14:15], v[18:19]
	v_fma_f64 v[14:15], v[16:17], s[14:15], v[24:25]
	v_mul_f64 v[16:17], v[22:23], s[6:7]
	v_fma_f64 v[18:19], v[0:1], s[14:15], v[97:98]
	v_fma_f64 v[4:5], v[0:1], s[14:15], v[4:5]
	v_add_f64 v[25:26], v[2:3], v[8:9]
	v_add_f64 v[0:1], v[36:37], v[113:114]
	v_mul_f64 v[2:3], v[12:13], s[4:5]
	v_mul_f64 v[8:9], v[6:7], s[4:5]
	;; [unrolled: 1-line block ×3, first 2 shown]
	v_fma_f64 v[16:17], v[20:21], s[20:21], v[16:17]
	v_mul_f64 v[20:21], v[20:21], s[16:17]
	v_mul_f64 v[29:30], v[18:19], s[10:11]
	;; [unrolled: 1-line block ×4, first 2 shown]
	v_fma_f64 v[31:32], v[18:19], s[14:15], v[2:3]
	v_fma_f64 v[33:34], v[4:5], s[18:19], v[8:9]
	;; [unrolled: 1-line block ×3, first 2 shown]
	v_add_f64 v[2:3], v[77:78], v[16:17]
	v_fma_f64 v[97:98], v[22:23], s[20:21], v[20:21]
	v_fma_f64 v[105:106], v[12:13], s[14:15], v[29:30]
	;; [unrolled: 1-line block ×4, first 2 shown]
	v_add_f64 v[4:5], v[95:96], v[31:32]
	v_add_f64 v[6:7], v[99:100], v[33:34]
	;; [unrolled: 1-line block ×3, first 2 shown]
	v_add_f64 v[10:11], v[36:37], -v[113:114]
	v_add_f64 v[27:28], v[77:78], -v[16:17]
	;; [unrolled: 1-line block ×5, first 2 shown]
	v_mul_u32_u24_e32 v16, 10, v82
	v_lshl_add_u32 v16, v16, 3, 0
	v_mul_i32_i24_e32 v17, 10, v84
	ds_write_b128 v16, v[40:43]
	ds_write_b128 v16, v[44:47] offset:16
	ds_write_b128 v16, v[48:51] offset:32
	;; [unrolled: 1-line block ×4, first 2 shown]
	v_lshl_add_u32 v42, v17, 3, 0
	s_movk_i32 s0, 0xffb8
	v_mad_i32_i24 v47, v82, s0, v16
	v_mad_i32_i24 v18, v84, s0, v42
	s_movk_i32 s0, 0xcd
	v_add_f64 v[12:13], v[93:94], v[25:26]
	v_add_f64 v[14:15], v[103:104], v[97:98]
	ds_write_b128 v42, v[0:3]
	ds_write_b128 v42, v[4:7] offset:16
	ds_write_b128 v42, v[8:11] offset:32
	;; [unrolled: 1-line block ×4, first 2 shown]
	v_mul_lo_u16_sdwa v10, v82, s0 dst_sel:DWORD dst_unused:UNUSED_PAD src0_sel:BYTE_0 src1_sel:DWORD
	v_add_f64 v[19:20], v[107:108], v[105:106]
	v_add_f64 v[21:22], v[111:112], v[109:110]
	v_lshrrev_b16_e32 v10, 11, v10
	v_add_f64 v[23:24], v[101:102], v[115:116]
	v_add_f64 v[25:26], v[93:94], -v[25:26]
	v_lshl_add_u32 v49, v85, 3, 0
	v_add_u32_e32 v43, 0x1e00, v47
	v_add_u32_e32 v50, 0x2b00, v47
	;; [unrolled: 1-line block ×7, first 2 shown]
	v_mul_lo_u16_e32 v11, 10, v10
	v_add_f64 v[35:36], v[103:104], -v[97:98]
	v_add_f64 v[37:38], v[107:108], -v[105:106]
	;; [unrolled: 1-line block ×4, first 2 shown]
	s_waitcnt lgkmcnt(0)
	s_barrier
	v_lshl_add_u32 v48, v83, 3, 0
	ds_read2_b64 v[2:5], v43 offset0:40 offset1:240
	ds_read2_b64 v[6:9], v50 offset0:24 offset1:224
	ds_read2_b64 v[27:30], v51 offset0:8 offset1:208
	ds_read2_b64 v[31:34], v45 offset0:24 offset1:224
	ds_read2_b64 v[65:68], v52 offset0:40 offset1:240
	ds_read2_b64 v[69:72], v44 offset0:24 offset1:224
	ds_read2_b64 v[95:98], v46 offset0:8 offset1:208
	ds_read_b64 v[39:40], v49
	ds_read_b64 v[0:1], v18
	;; [unrolled: 1-line block ×3, first 2 shown]
	ds_read_b64 v[111:112], v47 offset:4800
	ds_read_b64 v[113:114], v48
	ds_read_b64 v[115:116], v47 offset:30400
	s_waitcnt lgkmcnt(0)
	s_barrier
	ds_write_b128 v16, v[53:56]
	ds_write_b128 v16, v[57:60] offset:16
	ds_write_b128 v16, v[61:64] offset:32
	ds_write_b128 v16, v[73:76] offset:48
	ds_write_b128 v16, v[87:90] offset:64
	ds_write_b128 v42, v[12:15]
	ds_write_b128 v42, v[19:22] offset:16
	ds_write_b128 v42, v[23:26] offset:32
	;; [unrolled: 1-line block ×4, first 2 shown]
	v_sub_u16_e32 v11, v82, v11
	v_mov_b32_e32 v12, 9
	v_mul_u32_u24_sdwa v12, v11, v12 dst_sel:DWORD dst_unused:UNUSED_PAD src0_sel:BYTE_0 src1_sel:DWORD
	v_lshlrev_b32_e32 v41, 4, v12
	s_waitcnt lgkmcnt(0)
	s_barrier
	global_load_dwordx4 v[14:17], v41, s[8:9] offset:32
	s_mov_b32 s0, 0xcccd
	v_mul_u32_u24_sdwa v12, v84, s0 dst_sel:DWORD dst_unused:UNUSED_PAD src0_sel:WORD_0 src1_sel:DWORD
	v_lshrrev_b32_e32 v12, 19, v12
	v_mul_lo_u16_e32 v13, 10, v12
	v_sub_u16_e32 v13, v84, v13
	v_mul_u32_u24_e32 v19, 9, v13
	v_lshlrev_b32_e32 v79, 4, v19
	global_load_dwordx4 v[19:22], v79, s[8:9] offset:16
	global_load_dwordx4 v[23:26], v41, s[8:9] offset:48
	;; [unrolled: 1-line block ×9, first 2 shown]
	ds_read2_b64 v[99:102], v43 offset0:40 offset1:240
	ds_read2_b64 v[103:106], v50 offset0:24 offset1:224
	global_load_dwordx4 v[107:110], v41, s[8:9] offset:112
	s_movk_i32 s0, 0x64
	v_cmp_gt_u32_e64 s[0:1], s0, v82
	s_waitcnt vmcnt(10) lgkmcnt(1)
	v_mul_f64 v[117:118], v[101:102], v[16:17]
	s_waitcnt vmcnt(9)
	v_mul_f64 v[119:120], v[99:100], v[21:22]
	v_mul_f64 v[16:17], v[4:5], v[16:17]
	v_mul_f64 v[21:22], v[2:3], v[21:22]
	v_fma_f64 v[117:118], v[4:5], v[14:15], v[117:118]
	s_waitcnt vmcnt(8) lgkmcnt(0)
	v_mul_f64 v[4:5], v[105:106], v[25:26]
	v_fma_f64 v[119:120], v[2:3], v[19:20], v[119:120]
	s_waitcnt vmcnt(7)
	v_mul_f64 v[2:3], v[103:104], v[37:38]
	v_fma_f64 v[101:102], v[101:102], v[14:15], -v[16:17]
	v_fma_f64 v[99:100], v[99:100], v[19:20], -v[21:22]
	global_load_dwordx4 v[14:17], v79, s[8:9] offset:96
	ds_read2_b64 v[19:22], v51 offset0:8 offset1:208
	v_mul_f64 v[25:26], v[8:9], v[25:26]
	v_mul_f64 v[37:38], v[6:7], v[37:38]
	v_fma_f64 v[121:122], v[8:9], v[23:24], v[4:5]
	v_fma_f64 v[4:5], v[6:7], v[35:36], v[2:3]
	s_waitcnt vmcnt(7) lgkmcnt(0)
	v_mul_f64 v[8:9], v[21:22], v[55:56]
	v_mul_f64 v[6:7], v[29:30], v[55:56]
	s_waitcnt vmcnt(5)
	v_mul_f64 v[55:56], v[33:34], v[63:64]
	v_fma_f64 v[105:106], v[105:106], v[23:24], -v[25:26]
	global_load_dwordx4 v[23:26], v41, s[8:9]
	v_fma_f64 v[2:3], v[103:104], v[35:36], -v[37:38]
	global_load_dwordx4 v[35:38], v41, s[8:9] offset:16
	v_fma_f64 v[103:104], v[29:30], v[53:54], v[8:9]
	v_fma_f64 v[123:124], v[21:22], v[53:54], -v[6:7]
	ds_read2_b64 v[6:9], v45 offset0:24 offset1:224
	v_mul_f64 v[29:30], v[19:20], v[59:60]
	v_mul_f64 v[21:22], v[27:28], v[59:60]
	s_waitcnt vmcnt(5)
	v_mul_f64 v[59:60], v[67:68], v[89:90]
	s_waitcnt lgkmcnt(0)
	v_mul_f64 v[53:54], v[8:9], v[63:64]
	v_fma_f64 v[125:126], v[27:28], v[57:58], v[29:30]
	v_fma_f64 v[63:64], v[19:20], v[57:58], -v[21:22]
	global_load_dwordx4 v[19:22], v79, s[8:9]
	global_load_dwordx4 v[27:30], v41, s[8:9] offset:128
	v_fma_f64 v[127:128], v[33:34], v[61:62], v[53:54]
	v_mul_f64 v[53:54], v[31:32], v[75:76]
	v_mul_f64 v[57:58], v[6:7], v[75:76]
	v_fma_f64 v[61:62], v[8:9], v[61:62], -v[55:56]
	v_fma_f64 v[6:7], v[6:7], v[73:74], -v[53:54]
	global_load_dwordx4 v[53:56], v79, s[8:9] offset:112
	v_fma_f64 v[8:9], v[31:32], v[73:74], v[57:58]
	ds_read2_b64 v[31:34], v52 offset0:40 offset1:240
	s_waitcnt lgkmcnt(0)
	v_mul_f64 v[57:58], v[33:34], v[89:90]
	v_fma_f64 v[75:76], v[33:34], v[87:88], -v[59:60]
	s_waitcnt vmcnt(7)
	v_mul_f64 v[73:74], v[31:32], v[93:94]
	v_mul_f64 v[33:34], v[65:66], v[93:94]
	s_waitcnt vmcnt(6)
	v_mul_f64 v[89:90], v[71:72], v[109:110]
	v_fma_f64 v[67:68], v[67:68], v[87:88], v[57:58]
	global_load_dwordx4 v[57:60], v79, s[8:9] offset:128
	v_fma_f64 v[73:74], v[65:66], v[91:92], v[73:74]
	v_fma_f64 v[65:66], v[31:32], v[91:92], -v[33:34]
	ds_read2_b64 v[31:34], v44 offset0:24 offset1:224
	s_waitcnt lgkmcnt(0)
	v_mul_f64 v[87:88], v[33:34], v[109:110]
	v_fma_f64 v[33:34], v[33:34], v[107:108], -v[89:90]
	ds_read_b64 v[89:90], v47 offset:30400
	v_fma_f64 v[71:72], v[71:72], v[107:108], v[87:88]
	ds_read_b64 v[87:88], v48
	s_waitcnt vmcnt(6)
	v_mul_f64 v[91:92], v[31:32], v[16:17]
	v_mul_f64 v[16:17], v[69:70], v[16:17]
	v_fma_f64 v[69:70], v[69:70], v[14:15], v[91:92]
	v_fma_f64 v[31:32], v[31:32], v[14:15], -v[16:17]
	ds_read_b64 v[14:15], v49
	s_waitcnt vmcnt(5) lgkmcnt(1)
	v_mul_f64 v[91:92], v[87:88], v[25:26]
	v_mul_f64 v[16:17], v[113:114], v[25:26]
	ds_read_b64 v[25:26], v18
	s_waitcnt vmcnt(4) lgkmcnt(1)
	v_mul_f64 v[93:94], v[14:15], v[37:38]
	v_mul_f64 v[37:38], v[39:40], v[37:38]
	v_fma_f64 v[91:92], v[113:114], v[23:24], v[91:92]
	v_fma_f64 v[23:24], v[87:88], v[23:24], -v[16:17]
	ds_read_b64 v[87:88], v47 offset:4800
	v_add_f64 v[113:114], v[121:122], -v[127:128]
	v_fma_f64 v[39:40], v[39:40], v[35:36], v[93:94]
	v_fma_f64 v[35:36], v[14:15], v[35:36], -v[37:38]
	ds_read_b64 v[37:38], v47
	ds_read2_b64 v[14:17], v46 offset0:8 offset1:208
	s_waitcnt vmcnt(3) lgkmcnt(2)
	v_mul_f64 v[93:94], v[87:88], v[21:22]
	v_mul_f64 v[21:22], v[111:112], v[21:22]
	s_waitcnt vmcnt(0) lgkmcnt(0)
	s_barrier
	v_mul_f64 v[107:108], v[16:17], v[29:30]
	v_mul_f64 v[29:30], v[97:98], v[29:30]
	v_add_f64 v[109:110], v[39:40], -v[121:122]
	v_fma_f64 v[93:94], v[111:112], v[19:20], v[93:94]
	v_fma_f64 v[19:20], v[87:88], v[19:20], -v[21:22]
	v_add_f64 v[21:22], v[121:122], v[127:128]
	v_add_f64 v[111:112], v[71:72], -v[127:128]
	v_fma_f64 v[87:88], v[97:98], v[27:28], v[107:108]
	v_mul_f64 v[97:98], v[14:15], v[55:56]
	v_mul_f64 v[55:56], v[95:96], v[55:56]
	v_fma_f64 v[16:17], v[16:17], v[27:28], -v[29:30]
	v_add_f64 v[27:28], v[77:78], v[39:40]
	v_add_f64 v[29:30], v[35:36], -v[33:34]
	v_fma_f64 v[21:22], v[21:22], -0.5, v[77:78]
	v_add_f64 v[107:108], v[105:106], -v[61:62]
	v_add_f64 v[109:110], v[109:110], v[111:112]
	v_fma_f64 v[95:96], v[95:96], v[53:54], v[97:98]
	v_fma_f64 v[14:15], v[14:15], v[53:54], -v[55:56]
	v_add_f64 v[53:54], v[39:40], v[71:72]
	v_add_f64 v[27:28], v[27:28], v[121:122]
	v_fma_f64 v[97:98], v[29:30], s[4:5], v[21:22]
	v_fma_f64 v[21:22], v[29:30], s[10:11], v[21:22]
	v_mul_f64 v[55:56], v[89:90], v[59:60]
	v_mul_f64 v[59:60], v[115:116], v[59:60]
	v_fma_f64 v[53:54], v[53:54], -0.5, v[77:78]
	v_add_f64 v[77:78], v[105:106], v[61:62]
	v_add_f64 v[27:28], v[27:28], v[127:128]
	v_fma_f64 v[97:98], v[107:108], s[6:7], v[97:98]
	v_fma_f64 v[21:22], v[107:108], s[16:17], v[21:22]
	;; [unrolled: 1-line block ×3, first 2 shown]
	v_fma_f64 v[57:58], v[89:90], v[57:58], -v[59:60]
	v_add_f64 v[59:60], v[37:38], v[35:36]
	v_fma_f64 v[111:112], v[107:108], s[10:11], v[53:54]
	v_fma_f64 v[77:78], v[77:78], -0.5, v[37:38]
	v_add_f64 v[89:90], v[39:40], -v[71:72]
	v_add_f64 v[27:28], v[27:28], v[71:72]
	v_fma_f64 v[97:98], v[109:110], s[14:15], v[97:98]
	v_fma_f64 v[21:22], v[109:110], s[14:15], v[21:22]
	v_add_f64 v[39:40], v[121:122], -v[39:40]
	v_add_f64 v[71:72], v[127:128], -v[71:72]
	v_fma_f64 v[109:110], v[29:30], s[6:7], v[111:112]
	v_fma_f64 v[53:54], v[107:108], s[4:5], v[53:54]
	v_add_f64 v[59:60], v[59:60], v[105:106]
	v_fma_f64 v[107:108], v[89:90], s[10:11], v[77:78]
	v_add_f64 v[111:112], v[35:36], v[33:34]
	v_add_f64 v[115:116], v[35:36], -v[105:106]
	v_add_f64 v[121:122], v[33:34], -v[61:62]
	v_fma_f64 v[77:78], v[89:90], s[4:5], v[77:78]
	v_add_f64 v[39:40], v[39:40], v[71:72]
	v_fma_f64 v[29:30], v[29:30], s[16:17], v[53:54]
	v_add_f64 v[53:54], v[59:60], v[61:62]
	v_add_f64 v[59:60], v[91:92], v[117:118]
	v_fma_f64 v[37:38], v[111:112], -0.5, v[37:38]
	v_fma_f64 v[71:72], v[113:114], s[16:17], v[107:108]
	v_add_f64 v[107:108], v[115:116], v[121:122]
	v_fma_f64 v[77:78], v[113:114], s[6:7], v[77:78]
	v_add_f64 v[111:112], v[103:104], v[67:68]
	v_fma_f64 v[109:110], v[39:40], s[14:15], v[109:110]
	v_fma_f64 v[29:30], v[39:40], s[14:15], v[29:30]
	v_add_f64 v[39:40], v[53:54], v[33:34]
	v_fma_f64 v[53:54], v[113:114], s[4:5], v[37:38]
	v_add_f64 v[59:60], v[59:60], v[103:104]
	v_fma_f64 v[71:72], v[107:108], s[14:15], v[71:72]
	v_fma_f64 v[77:78], v[107:108], s[14:15], v[77:78]
	v_add_f64 v[35:36], v[105:106], -v[35:36]
	v_add_f64 v[33:34], v[61:62], -v[33:34]
	v_fma_f64 v[37:38], v[113:114], s[10:11], v[37:38]
	v_fma_f64 v[61:62], v[111:112], -0.5, v[91:92]
	v_add_f64 v[107:108], v[117:118], -v[103:104]
	v_add_f64 v[111:112], v[87:88], -v[67:68]
	v_fma_f64 v[53:54], v[89:90], s[16:17], v[53:54]
	v_add_f64 v[59:60], v[59:60], v[67:68]
	v_add_f64 v[113:114], v[67:68], -v[87:88]
	v_add_f64 v[33:34], v[35:36], v[33:34]
	v_fma_f64 v[35:36], v[89:90], s[6:7], v[37:38]
	v_add_f64 v[89:90], v[103:104], -v[117:118]
	v_add_f64 v[121:122], v[123:124], v[75:76]
	v_add_f64 v[107:108], v[107:108], v[111:112]
	;; [unrolled: 1-line block ×3, first 2 shown]
	v_add_f64 v[105:106], v[101:102], -v[16:17]
	v_add_f64 v[37:38], v[117:118], v[87:88]
	v_add_f64 v[59:60], v[59:60], v[87:88]
	v_add_f64 v[67:68], v[103:104], -v[67:68]
	v_add_f64 v[89:90], v[89:90], v[113:114]
	v_add_f64 v[103:104], v[101:102], -v[123:124]
	v_add_f64 v[113:114], v[16:17], -v[75:76]
	v_fma_f64 v[111:112], v[111:112], -0.5, v[23:24]
	v_fma_f64 v[121:122], v[121:122], -0.5, v[23:24]
	v_add_f64 v[23:24], v[23:24], v[101:102]
	v_add_f64 v[87:88], v[117:118], -v[87:88]
	v_add_f64 v[101:102], v[123:124], -v[101:102]
	;; [unrolled: 1-line block ×3, first 2 shown]
	v_fma_f64 v[37:38], v[37:38], -0.5, v[91:92]
	v_add_f64 v[91:92], v[123:124], -v[75:76]
	v_add_f64 v[103:104], v[103:104], v[113:114]
	v_fma_f64 v[113:114], v[67:68], s[4:5], v[111:112]
	v_fma_f64 v[111:112], v[67:68], s[10:11], v[111:112]
	;; [unrolled: 1-line block ×4, first 2 shown]
	v_add_f64 v[101:102], v[101:102], v[117:118]
	v_fma_f64 v[117:118], v[87:88], s[10:11], v[121:122]
	v_fma_f64 v[121:122], v[87:88], s[4:5], v[121:122]
	v_add_f64 v[23:24], v[23:24], v[123:124]
	v_fma_f64 v[113:114], v[87:88], s[16:17], v[113:114]
	v_fma_f64 v[87:88], v[87:88], s[6:7], v[111:112]
	v_fma_f64 v[111:112], v[91:92], s[10:11], v[37:38]
	v_fma_f64 v[37:38], v[91:92], s[4:5], v[37:38]
	v_fma_f64 v[115:116], v[91:92], s[6:7], v[115:116]
	v_fma_f64 v[117:118], v[67:68], s[16:17], v[117:118]
	v_fma_f64 v[67:68], v[67:68], s[6:7], v[121:122]
	v_fma_f64 v[61:62], v[91:92], s[16:17], v[61:62]
	v_fma_f64 v[113:114], v[101:102], s[14:15], v[113:114]
	v_fma_f64 v[87:88], v[101:102], s[14:15], v[87:88]
	v_fma_f64 v[111:112], v[105:106], s[6:7], v[111:112]
	v_fma_f64 v[37:38], v[105:106], s[16:17], v[37:38]
	v_fma_f64 v[115:116], v[107:108], s[14:15], v[115:116]
	v_fma_f64 v[105:106], v[103:104], s[14:15], v[117:118]
	v_add_f64 v[23:24], v[23:24], v[75:76]
	v_fma_f64 v[67:68], v[103:104], s[14:15], v[67:68]
	v_fma_f64 v[53:54], v[33:34], s[14:15], v[53:54]
	v_mul_f64 v[101:102], v[87:88], s[4:5]
	v_fma_f64 v[91:92], v[89:90], s[14:15], v[111:112]
	v_fma_f64 v[37:38], v[89:90], s[14:15], v[37:38]
	v_mul_f64 v[89:90], v[113:114], s[4:5]
	v_mul_f64 v[75:76], v[105:106], s[6:7]
	;; [unrolled: 1-line block ×4, first 2 shown]
	v_fma_f64 v[33:34], v[33:34], s[14:15], v[35:36]
	v_fma_f64 v[35:36], v[107:108], s[14:15], v[61:62]
	v_add_f64 v[16:17], v[23:24], v[16:17]
	v_mul_f64 v[23:24], v[67:68], s[6:7]
	v_fma_f64 v[89:90], v[91:92], s[14:15], v[89:90]
	v_fma_f64 v[75:76], v[115:116], s[20:21], v[75:76]
	v_mul_f64 v[67:68], v[67:68], s[22:23]
	v_fma_f64 v[103:104], v[115:116], s[16:17], v[103:104]
	v_fma_f64 v[91:92], v[91:92], s[10:11], v[105:106]
	v_add_f64 v[105:106], v[0:1], v[119:120]
	v_add_f64 v[115:116], v[125:126], v[73:74]
	v_fma_f64 v[101:102], v[37:38], s[18:19], v[101:102]
	v_mul_f64 v[87:88], v[87:88], s[18:19]
	v_fma_f64 v[23:24], v[35:36], s[22:23], v[23:24]
	v_add_f64 v[107:108], v[97:98], v[75:76]
	v_fma_f64 v[35:36], v[35:36], s[16:17], v[67:68]
	v_add_f64 v[67:68], v[39:40], v[16:17]
	v_add_f64 v[75:76], v[97:98], -v[75:76]
	v_add_f64 v[97:98], v[105:106], v[125:126]
	v_fma_f64 v[105:106], v[115:116], -0.5, v[0:1]
	v_add_f64 v[115:116], v[99:100], -v[14:15]
	v_add_f64 v[39:40], v[39:40], -v[16:17]
	v_add_f64 v[16:17], v[119:120], v[95:96]
	v_add_f64 v[111:112], v[109:110], v[89:90]
	;; [unrolled: 1-line block ×3, first 2 shown]
	v_fma_f64 v[37:38], v[37:38], s[10:11], v[87:88]
	v_add_f64 v[87:88], v[21:22], v[23:24]
	v_add_f64 v[117:118], v[71:72], v[103:104]
	v_add_f64 v[89:90], v[109:110], -v[89:90]
	v_add_f64 v[29:30], v[29:30], -v[101:102]
	;; [unrolled: 1-line block ×4, first 2 shown]
	v_add_f64 v[23:24], v[97:98], v[73:74]
	v_fma_f64 v[97:98], v[115:116], s[4:5], v[105:106]
	v_add_f64 v[101:102], v[63:64], -v[65:66]
	v_add_f64 v[103:104], v[119:120], -v[125:126]
	;; [unrolled: 1-line block ×3, first 2 shown]
	v_fma_f64 v[0:1], v[16:17], -0.5, v[0:1]
	v_add_f64 v[61:62], v[27:28], v[59:60]
	v_add_f64 v[121:122], v[53:54], v[91:92]
	v_add_f64 v[27:28], v[27:28], -v[59:60]
	v_add_f64 v[59:60], v[77:78], v[35:36]
	v_add_f64 v[53:54], v[53:54], -v[91:92]
	v_add_f64 v[35:36], v[77:78], -v[35:36]
	v_add_f64 v[16:17], v[23:24], v[95:96]
	v_fma_f64 v[23:24], v[101:102], s[6:7], v[97:98]
	v_add_f64 v[77:78], v[103:104], v[109:110]
	v_fma_f64 v[91:92], v[115:116], s[10:11], v[105:106]
	v_fma_f64 v[97:98], v[101:102], s[10:11], v[0:1]
	v_add_f64 v[103:104], v[125:126], -v[119:120]
	v_add_f64 v[105:106], v[73:74], -v[95:96]
	v_fma_f64 v[0:1], v[101:102], s[4:5], v[0:1]
	v_add_f64 v[109:110], v[25:26], v[99:100]
	v_add_f64 v[123:124], v[33:34], v[37:38]
	v_add_f64 v[37:38], v[33:34], -v[37:38]
	v_add_f64 v[33:34], v[63:64], v[65:66]
	v_fma_f64 v[91:92], v[101:102], s[16:17], v[91:92]
	v_fma_f64 v[97:98], v[115:116], s[6:7], v[97:98]
	v_add_f64 v[101:102], v[103:104], v[105:106]
	v_fma_f64 v[0:1], v[115:116], s[16:17], v[0:1]
	v_add_f64 v[103:104], v[99:100], v[14:15]
	v_add_f64 v[105:106], v[109:110], v[63:64]
	v_add_f64 v[95:96], v[119:120], -v[95:96]
	v_fma_f64 v[33:34], v[33:34], -0.5, v[25:26]
	v_fma_f64 v[23:24], v[77:78], s[14:15], v[23:24]
	v_add_f64 v[73:74], v[125:126], -v[73:74]
	v_fma_f64 v[77:78], v[77:78], s[14:15], v[91:92]
	v_add_f64 v[91:92], v[99:100], -v[63:64]
	v_add_f64 v[115:116], v[14:15], -v[65:66]
	v_fma_f64 v[97:98], v[101:102], s[14:15], v[97:98]
	v_fma_f64 v[25:26], v[103:104], -0.5, v[25:26]
	v_fma_f64 v[0:1], v[101:102], s[14:15], v[0:1]
	v_add_f64 v[101:102], v[105:106], v[65:66]
	v_add_f64 v[105:106], v[93:94], v[4:5]
	v_fma_f64 v[109:110], v[95:96], s[10:11], v[33:34]
	v_fma_f64 v[33:34], v[95:96], s[4:5], v[33:34]
	v_add_f64 v[91:92], v[91:92], v[115:116]
	v_add_f64 v[63:64], v[63:64], -v[99:100]
	v_fma_f64 v[115:116], v[73:74], s[4:5], v[25:26]
	v_add_f64 v[65:66], v[65:66], -v[14:15]
	v_fma_f64 v[25:26], v[73:74], s[10:11], v[25:26]
	v_add_f64 v[99:100], v[105:106], v[8:9]
	v_fma_f64 v[103:104], v[73:74], s[16:17], v[109:110]
	v_add_f64 v[109:110], v[8:9], v[69:70]
	v_fma_f64 v[33:34], v[73:74], s[6:7], v[33:34]
	v_add_f64 v[14:15], v[101:102], v[14:15]
	v_fma_f64 v[73:74], v[95:96], s[16:17], v[115:116]
	v_add_f64 v[63:64], v[63:64], v[65:66]
	v_fma_f64 v[25:26], v[95:96], s[6:7], v[25:26]
	v_add_f64 v[65:66], v[99:100], v[69:70]
	v_fma_f64 v[101:102], v[91:92], s[14:15], v[103:104]
	v_add_f64 v[103:104], v[4:5], -v[8:9]
	v_add_f64 v[115:116], v[55:56], -v[69:70]
	v_fma_f64 v[105:106], v[109:110], -0.5, v[93:94]
	v_add_f64 v[109:110], v[2:3], -v[57:58]
	v_fma_f64 v[33:34], v[91:92], s[14:15], v[33:34]
	v_fma_f64 v[73:74], v[63:64], s[14:15], v[73:74]
	v_add_f64 v[91:92], v[4:5], v[55:56]
	v_fma_f64 v[25:26], v[63:64], s[14:15], v[25:26]
	v_add_f64 v[63:64], v[65:66], v[55:56]
	v_add_f64 v[65:66], v[6:7], v[31:32]
	v_add_f64 v[103:104], v[103:104], v[115:116]
	v_add_f64 v[115:116], v[2:3], v[57:58]
	v_fma_f64 v[95:96], v[109:110], s[4:5], v[105:106]
	v_add_f64 v[99:100], v[6:7], -v[31:32]
	v_fma_f64 v[105:106], v[109:110], s[10:11], v[105:106]
	v_fma_f64 v[91:92], v[91:92], -0.5, v[93:94]
	v_add_f64 v[93:94], v[8:9], -v[4:5]
	v_fma_f64 v[65:66], v[65:66], -0.5, v[19:20]
	v_add_f64 v[4:5], v[4:5], -v[55:56]
	v_add_f64 v[119:120], v[19:20], v[2:3]
	v_add_f64 v[125:126], v[2:3], -v[6:7]
	v_fma_f64 v[19:20], v[115:116], -0.5, v[19:20]
	v_add_f64 v[115:116], v[57:58], -v[31:32]
	v_add_f64 v[8:9], v[8:9], -v[69:70]
	v_fma_f64 v[95:96], v[99:100], s[6:7], v[95:96]
	v_fma_f64 v[105:106], v[99:100], s[16:17], v[105:106]
	v_add_f64 v[55:56], v[69:70], -v[55:56]
	v_fma_f64 v[69:70], v[99:100], s[10:11], v[91:92]
	v_fma_f64 v[91:92], v[99:100], s[4:5], v[91:92]
	;; [unrolled: 1-line block ×3, first 2 shown]
	v_add_f64 v[119:120], v[119:120], v[6:7]
	v_add_f64 v[115:116], v[125:126], v[115:116]
	v_fma_f64 v[125:126], v[8:9], s[4:5], v[19:20]
	v_add_f64 v[2:3], v[6:7], -v[2:3]
	v_add_f64 v[6:7], v[31:32], -v[57:58]
	v_fma_f64 v[19:20], v[8:9], s[10:11], v[19:20]
	v_fma_f64 v[65:66], v[4:5], s[4:5], v[65:66]
	;; [unrolled: 1-line block ×4, first 2 shown]
	v_add_f64 v[31:32], v[119:120], v[31:32]
	v_fma_f64 v[125:126], v[4:5], s[16:17], v[125:126]
	v_fma_f64 v[95:96], v[103:104], s[14:15], v[95:96]
	v_add_f64 v[2:3], v[2:3], v[6:7]
	v_fma_f64 v[4:5], v[4:5], s[6:7], v[19:20]
	v_fma_f64 v[6:7], v[8:9], s[6:7], v[65:66]
	;; [unrolled: 1-line block ×3, first 2 shown]
	v_add_f64 v[19:20], v[93:94], v[55:56]
	v_fma_f64 v[55:56], v[109:110], s[16:17], v[91:92]
	v_add_f64 v[31:32], v[31:32], v[57:58]
	v_fma_f64 v[65:66], v[103:104], s[14:15], v[105:106]
	v_fma_f64 v[91:92], v[2:3], s[14:15], v[125:126]
	;; [unrolled: 1-line block ×4, first 2 shown]
	v_mul_f64 v[6:7], v[8:9], s[6:7]
	v_fma_f64 v[69:70], v[19:20], s[14:15], v[69:70]
	v_fma_f64 v[19:20], v[19:20], s[14:15], v[55:56]
	v_mul_f64 v[8:9], v[8:9], s[20:21]
	v_add_f64 v[55:56], v[16:17], v[63:64]
	v_mul_f64 v[57:58], v[91:92], s[4:5]
	v_mul_f64 v[93:94], v[2:3], s[4:5]
	;; [unrolled: 1-line block ×5, first 2 shown]
	v_fma_f64 v[6:7], v[95:96], s[20:21], v[6:7]
	v_mul_f64 v[4:5], v[4:5], s[22:23]
	v_fma_f64 v[8:9], v[95:96], s[16:17], v[8:9]
	v_fma_f64 v[57:58], v[69:70], s[14:15], v[57:58]
	;; [unrolled: 1-line block ×6, first 2 shown]
	v_add_f64 v[103:104], v[23:24], v[6:7]
	v_fma_f64 v[4:5], v[65:66], s[16:17], v[4:5]
	v_add_f64 v[16:17], v[16:17], -v[63:64]
	v_add_f64 v[19:20], v[97:98], v[57:58]
	v_add_f64 v[65:66], v[0:1], v[93:94]
	;; [unrolled: 1-line block ×3, first 2 shown]
	v_add_f64 v[6:7], v[23:24], -v[6:7]
	v_add_f64 v[23:24], v[97:98], -v[57:58]
	v_add_f64 v[109:110], v[73:74], v[69:70]
	v_add_f64 v[115:116], v[25:26], v[2:3]
	v_add_f64 v[0:1], v[0:1], -v[93:94]
	v_add_f64 v[57:58], v[77:78], -v[99:100]
	;; [unrolled: 1-line block ×4, first 2 shown]
	v_mov_b32_e32 v3, 3
	v_mul_u32_u24_e32 v2, 0x320, v10
	v_lshlrev_b32_sdwa v3, v3, v11 dst_sel:DWORD dst_unused:UNUSED_PAD src0_sel:DWORD src1_sel:BYTE_0
	v_add_f64 v[95:96], v[14:15], v[31:32]
	v_add_f64 v[105:106], v[101:102], v[8:9]
	v_add3_u32 v41, 0, v2, v3
	v_mul_u32_u24_e32 v2, 0x320, v12
	v_lshlrev_b32_e32 v3, 3, v13
	v_add3_u32 v12, 0, v2, v3
	v_add_f64 v[119:120], v[33:34], v[4:5]
	v_add_f64 v[63:64], v[14:15], -v[31:32]
	ds_write2_b64 v41, v[61:62], v[107:108] offset1:10
	ds_write2_b64 v41, v[111:112], v[113:114] offset0:20 offset1:30
	ds_write2_b64 v41, v[87:88], v[27:28] offset0:40 offset1:50
	;; [unrolled: 1-line block ×4, first 2 shown]
	ds_write2_b64 v12, v[55:56], v[103:104] offset1:10
	ds_write2_b64 v12, v[19:20], v[65:66] offset0:20 offset1:30
	ds_write2_b64 v12, v[91:92], v[16:17] offset0:40 offset1:50
	;; [unrolled: 1-line block ×4, first 2 shown]
	v_add_u32_e32 v0, 0xffffff9c, v82
	v_add_f64 v[77:78], v[101:102], -v[8:9]
	v_add_f64 v[93:94], v[33:34], -v[4:5]
	s_waitcnt lgkmcnt(0)
	s_barrier
	ds_read2_b64 v[4:7], v43 offset0:40 offset1:240
	ds_read2_b64 v[8:11], v50 offset0:24 offset1:224
	;; [unrolled: 1-line block ×7, first 2 shown]
	ds_read_b64 v[107:108], v49
	ds_read_b64 v[2:3], v18
	;; [unrolled: 1-line block ×3, first 2 shown]
	ds_read_b64 v[113:114], v47 offset:4800
	ds_read_b64 v[125:126], v48
	ds_read_b64 v[127:128], v47 offset:30400
	s_waitcnt lgkmcnt(0)
	s_barrier
	ds_write2_b64 v41, v[67:68], v[117:118] offset1:10
	ds_write2_b64 v41, v[121:122], v[123:124] offset0:20 offset1:30
	ds_write2_b64 v41, v[59:60], v[39:40] offset0:40 offset1:50
	ds_write2_b64 v41, v[71:72], v[53:54] offset0:60 offset1:70
	ds_write2_b64 v41, v[37:38], v[35:36] offset0:80 offset1:90
	ds_write2_b64 v12, v[95:96], v[105:106] offset1:10
	ds_write2_b64 v12, v[109:110], v[115:116] offset0:20 offset1:30
	ds_write2_b64 v12, v[119:120], v[63:64] offset0:40 offset1:50
	;; [unrolled: 1-line block ×4, first 2 shown]
	v_cndmask_b32_e64 v12, v0, v82, s[0:1]
	v_mul_i32_i24_e32 v0, 9, v12
	v_mov_b32_e32 v1, 0
	v_lshlrev_b64 v[35:36], 4, v[0:1]
	v_mov_b32_e32 v0, s9
	v_add_co_u32_e64 v77, s[0:1], s8, v35
	v_addc_co_u32_e64 v78, s[0:1], v0, v36, s[0:1]
	s_waitcnt lgkmcnt(0)
	s_barrier
	global_load_dwordx4 v[35:38], v[77:78], off offset:1472
	v_lshrrev_b16_e32 v0, 2, v84
	v_mul_u32_u24_e32 v0, 0x147b, v0
	v_lshrrev_b32_e32 v0, 17, v0
	v_mul_lo_u16_e32 v13, 0x64, v0
	v_sub_u16_e32 v13, v84, v13
	v_mul_u32_u24_e32 v39, 9, v13
	v_lshlrev_b32_e32 v41, 4, v39
	global_load_dwordx4 v[53:56], v41, s[8:9] offset:1456
	global_load_dwordx4 v[57:60], v[77:78], off offset:1488
	global_load_dwordx4 v[61:64], v41, s[8:9] offset:1472
	global_load_dwordx4 v[65:68], v[77:78], off offset:1504
	;; [unrolled: 2-line block ×4, first 2 shown]
	global_load_dwordx4 v[95:98], v41, s[8:9] offset:1520
	ds_read2_b64 v[99:102], v43 offset0:40 offset1:240
	s_movk_i32 s0, 0x63
	v_cmp_lt_u32_e64 s[0:1], s0, v82
	v_mul_u32_u24_e32 v0, 0x1f40, v0
	s_waitcnt vmcnt(9) lgkmcnt(0)
	v_mul_f64 v[103:104], v[101:102], v[37:38]
	v_mul_f64 v[105:106], v[6:7], v[37:38]
	ds_read2_b64 v[37:40], v50 offset0:24 offset1:224
	s_waitcnt vmcnt(8)
	v_mul_f64 v[109:110], v[99:100], v[55:56]
	v_mul_f64 v[55:56], v[4:5], v[55:56]
	v_fma_f64 v[115:116], v[6:7], v[35:36], v[103:104]
	s_waitcnt vmcnt(7) lgkmcnt(0)
	v_mul_f64 v[6:7], v[39:40], v[59:60]
	v_fma_f64 v[105:106], v[101:102], v[35:36], -v[105:106]
	v_mul_f64 v[35:36], v[10:11], v[59:60]
	v_fma_f64 v[109:110], v[4:5], v[53:54], v[109:110]
	s_waitcnt vmcnt(6)
	v_mul_f64 v[4:5], v[37:38], v[63:64]
	global_load_dwordx4 v[101:104], v[77:78], off offset:1552
	v_fma_f64 v[99:100], v[99:100], v[53:54], -v[55:56]
	ds_read2_b64 v[53:56], v51 offset0:8 offset1:208
	v_fma_f64 v[117:118], v[10:11], v[57:58], v[6:7]
	v_mul_f64 v[10:11], v[8:9], v[63:64]
	v_fma_f64 v[39:40], v[39:40], v[57:58], -v[35:36]
	global_load_dwordx4 v[57:60], v41, s[8:9] offset:1536
	s_waitcnt vmcnt(7) lgkmcnt(0)
	v_mul_f64 v[63:64], v[55:56], v[67:68]
	v_fma_f64 v[6:7], v[8:9], v[61:62], v[4:5]
	v_mul_f64 v[8:9], v[16:17], v[67:68]
	s_waitcnt vmcnt(6)
	v_mul_f64 v[67:68], v[53:54], v[71:72]
	v_fma_f64 v[4:5], v[37:38], v[61:62], -v[10:11]
	v_mul_f64 v[61:62], v[14:15], v[71:72]
	global_load_dwordx4 v[35:38], v[77:78], off offset:1440
	v_fma_f64 v[119:120], v[16:17], v[65:66], v[63:64]
	s_waitcnt vmcnt(4)
	v_mul_f64 v[71:72], v[25:26], v[93:94]
	v_fma_f64 v[121:122], v[55:56], v[65:66], -v[8:9]
	ds_read2_b64 v[8:11], v45 offset0:24 offset1:224
	v_fma_f64 v[123:124], v[14:15], v[69:70], v[67:68]
	global_load_dwordx4 v[14:17], v[77:78], off offset:1456
	v_fma_f64 v[129:130], v[53:54], v[69:70], -v[61:62]
	v_mul_f64 v[61:62], v[21:22], v[75:76]
	s_waitcnt lgkmcnt(0)
	v_mul_f64 v[55:56], v[10:11], v[75:76]
	v_mul_f64 v[65:66], v[8:9], v[89:90]
	;; [unrolled: 1-line block ×3, first 2 shown]
	v_fma_f64 v[75:76], v[21:22], v[73:74], v[55:56]
	global_load_dwordx4 v[53:56], v41, s[8:9] offset:1440
	v_fma_f64 v[73:74], v[10:11], v[73:74], -v[61:62]
	global_load_dwordx4 v[61:64], v[77:78], off offset:1568
	v_fma_f64 v[10:11], v[19:20], v[87:88], v[65:66]
	v_fma_f64 v[8:9], v[8:9], v[87:88], -v[67:68]
	global_load_dwordx4 v[65:68], v41, s[8:9] offset:1552
	ds_read2_b64 v[19:22], v52 offset0:40 offset1:240
	s_waitcnt lgkmcnt(0)
	v_mul_f64 v[69:70], v[21:22], v[93:94]
	v_fma_f64 v[77:78], v[21:22], v[91:92], -v[71:72]
	s_waitcnt vmcnt(7)
	v_mul_f64 v[21:22], v[19:20], v[97:98]
	v_fma_f64 v[25:26], v[25:26], v[91:92], v[69:70]
	global_load_dwordx4 v[69:72], v41, s[8:9] offset:1568
	v_fma_f64 v[87:88], v[23:24], v[95:96], v[21:22]
	v_mul_f64 v[21:22], v[23:24], v[97:98]
	v_fma_f64 v[23:24], v[19:20], v[95:96], -v[21:22]
	ds_read2_b64 v[19:22], v44 offset0:24 offset1:224
	s_waitcnt vmcnt(7) lgkmcnt(0)
	v_mul_f64 v[89:90], v[21:22], v[103:104]
	v_mul_f64 v[91:92], v[29:30], v[103:104]
	s_waitcnt vmcnt(6)
	v_mul_f64 v[93:94], v[19:20], v[59:60]
	v_mul_f64 v[59:60], v[27:28], v[59:60]
	v_fma_f64 v[29:30], v[29:30], v[101:102], v[89:90]
	ds_read_b64 v[89:90], v48
	v_fma_f64 v[21:22], v[21:22], v[101:102], -v[91:92]
	ds_read_b64 v[91:92], v47 offset:30400
	v_fma_f64 v[27:28], v[27:28], v[57:58], v[93:94]
	v_fma_f64 v[19:20], v[19:20], v[57:58], -v[59:60]
	ds_read_b64 v[57:58], v49
	s_waitcnt vmcnt(5) lgkmcnt(2)
	v_mul_f64 v[93:94], v[89:90], v[37:38]
	v_mul_f64 v[37:38], v[125:126], v[37:38]
	ds_read_b64 v[59:60], v18
	s_waitcnt vmcnt(4) lgkmcnt(1)
	v_mul_f64 v[95:96], v[57:58], v[16:17]
	v_mul_f64 v[16:17], v[107:108], v[16:17]
	v_fma_f64 v[93:94], v[125:126], v[35:36], v[93:94]
	v_fma_f64 v[35:36], v[89:90], v[35:36], -v[37:38]
	ds_read_b64 v[37:38], v47 offset:4800
	v_fma_f64 v[89:90], v[107:108], v[14:15], v[95:96]
	ds_read_b64 v[95:96], v47
	v_fma_f64 v[57:58], v[57:58], v[14:15], -v[16:17]
	ds_read2_b64 v[14:17], v46 offset0:8 offset1:208
	s_waitcnt vmcnt(3) lgkmcnt(2)
	v_mul_f64 v[97:98], v[37:38], v[55:56]
	v_mul_f64 v[55:56], v[113:114], v[55:56]
	v_add_f64 v[107:108], v[29:30], -v[75:76]
	s_waitcnt vmcnt(2) lgkmcnt(0)
	v_mul_f64 v[101:102], v[16:17], v[63:64]
	v_mul_f64 v[63:64], v[33:34], v[63:64]
	v_add_f64 v[103:104], v[89:90], -v[117:118]
	s_waitcnt vmcnt(0)
	s_barrier
	v_fma_f64 v[97:98], v[113:114], v[53:54], v[97:98]
	v_fma_f64 v[37:38], v[37:38], v[53:54], -v[55:56]
	v_add_f64 v[53:54], v[117:118], v[75:76]
	v_mul_f64 v[55:56], v[14:15], v[67:68]
	v_fma_f64 v[33:34], v[33:34], v[61:62], v[101:102]
	v_fma_f64 v[16:17], v[16:17], v[61:62], -v[63:64]
	v_add_f64 v[61:62], v[111:112], v[89:90]
	v_mul_f64 v[67:68], v[31:32], v[67:68]
	v_add_f64 v[63:64], v[57:58], -v[21:22]
	v_add_f64 v[101:102], v[39:40], -v[73:74]
	v_fma_f64 v[53:54], v[53:54], -0.5, v[111:112]
	v_fma_f64 v[31:32], v[31:32], v[65:66], v[55:56]
	v_add_f64 v[55:56], v[89:90], v[29:30]
	v_add_f64 v[103:104], v[103:104], v[107:108]
	;; [unrolled: 1-line block ×3, first 2 shown]
	v_fma_f64 v[14:15], v[14:15], v[65:66], -v[67:68]
	v_mul_f64 v[65:66], v[91:92], v[71:72]
	v_mul_f64 v[71:72], v[127:128], v[71:72]
	v_fma_f64 v[67:68], v[63:64], s[4:5], v[53:54]
	v_fma_f64 v[53:54], v[63:64], s[10:11], v[53:54]
	v_fma_f64 v[55:56], v[55:56], -0.5, v[111:112]
	v_add_f64 v[111:112], v[39:40], v[73:74]
	v_add_f64 v[61:62], v[61:62], v[75:76]
	v_add_f64 v[113:114], v[57:58], -v[39:40]
	v_fma_f64 v[65:66], v[127:128], v[69:70], v[65:66]
	v_fma_f64 v[69:70], v[91:92], v[69:70], -v[71:72]
	v_fma_f64 v[67:68], v[101:102], s[6:7], v[67:68]
	v_fma_f64 v[53:54], v[101:102], s[16:17], v[53:54]
	v_fma_f64 v[107:108], v[101:102], s[10:11], v[55:56]
	v_add_f64 v[71:72], v[95:96], v[57:58]
	v_add_f64 v[61:62], v[61:62], v[29:30]
	v_fma_f64 v[91:92], v[111:112], -0.5, v[95:96]
	v_add_f64 v[111:112], v[89:90], -v[29:30]
	v_add_f64 v[89:90], v[117:118], -v[89:90]
	;; [unrolled: 1-line block ×3, first 2 shown]
	v_fma_f64 v[67:68], v[103:104], s[14:15], v[67:68]
	v_fma_f64 v[53:54], v[103:104], s[14:15], v[53:54]
	;; [unrolled: 1-line block ×4, first 2 shown]
	v_add_f64 v[71:72], v[71:72], v[39:40]
	v_fma_f64 v[101:102], v[111:112], s[10:11], v[91:92]
	v_add_f64 v[107:108], v[57:58], v[21:22]
	v_add_f64 v[75:76], v[117:118], -v[75:76]
	v_add_f64 v[117:118], v[21:22], -v[73:74]
	v_fma_f64 v[91:92], v[111:112], s[4:5], v[91:92]
	v_add_f64 v[29:30], v[89:90], v[29:30]
	v_add_f64 v[89:90], v[93:94], v[115:116]
	v_fma_f64 v[55:56], v[63:64], s[16:17], v[55:56]
	v_add_f64 v[63:64], v[71:72], v[73:74]
	v_fma_f64 v[71:72], v[107:108], -0.5, v[95:96]
	v_fma_f64 v[95:96], v[75:76], s[16:17], v[101:102]
	v_add_f64 v[101:102], v[113:114], v[117:118]
	v_fma_f64 v[91:92], v[75:76], s[6:7], v[91:92]
	v_fma_f64 v[103:104], v[29:30], s[14:15], v[103:104]
	v_add_f64 v[89:90], v[89:90], v[119:120]
	v_fma_f64 v[29:30], v[29:30], s[14:15], v[55:56]
	v_add_f64 v[55:56], v[63:64], v[21:22]
	;; [unrolled: 2-line block ×3, first 2 shown]
	v_fma_f64 v[95:96], v[101:102], s[14:15], v[95:96]
	v_fma_f64 v[91:92], v[101:102], s[14:15], v[91:92]
	v_add_f64 v[39:40], v[39:40], -v[57:58]
	v_add_f64 v[21:22], v[73:74], -v[21:22]
	v_fma_f64 v[57:58], v[75:76], s[10:11], v[71:72]
	v_add_f64 v[71:72], v[89:90], v[25:26]
	v_add_f64 v[89:90], v[115:116], -v[119:120]
	v_add_f64 v[101:102], v[33:34], -v[25:26]
	v_fma_f64 v[63:64], v[111:112], s[16:17], v[63:64]
	v_fma_f64 v[73:74], v[107:108], -0.5, v[93:94]
	v_add_f64 v[107:108], v[119:120], -v[115:116]
	v_add_f64 v[21:22], v[39:40], v[21:22]
	v_fma_f64 v[39:40], v[111:112], s[6:7], v[57:58]
	v_add_f64 v[111:112], v[25:26], -v[33:34]
	v_add_f64 v[117:118], v[121:122], v[77:78]
	v_add_f64 v[89:90], v[89:90], v[101:102]
	v_add_f64 v[101:102], v[105:106], v[16:17]
	v_add_f64 v[75:76], v[105:106], -v[16:17]
	v_add_f64 v[57:58], v[115:116], v[33:34]
	v_add_f64 v[71:72], v[71:72], v[33:34]
	v_add_f64 v[25:26], v[119:120], -v[25:26]
	v_add_f64 v[107:108], v[107:108], v[111:112]
	v_add_f64 v[111:112], v[105:106], -v[121:122]
	v_add_f64 v[119:120], v[16:17], -v[77:78]
	v_fma_f64 v[101:102], v[101:102], -0.5, v[35:36]
	v_fma_f64 v[117:118], v[117:118], -0.5, v[35:36]
	v_add_f64 v[35:36], v[35:36], v[105:106]
	v_add_f64 v[33:34], v[115:116], -v[33:34]
	v_add_f64 v[105:106], v[121:122], -v[105:106]
	;; [unrolled: 1-line block ×3, first 2 shown]
	v_fma_f64 v[57:58], v[57:58], -0.5, v[93:94]
	v_add_f64 v[93:94], v[121:122], -v[77:78]
	v_add_f64 v[111:112], v[111:112], v[119:120]
	v_fma_f64 v[119:120], v[25:26], s[4:5], v[101:102]
	v_fma_f64 v[101:102], v[25:26], s[10:11], v[101:102]
	;; [unrolled: 1-line block ×4, first 2 shown]
	v_add_f64 v[105:106], v[105:106], v[115:116]
	v_fma_f64 v[115:116], v[33:34], s[10:11], v[117:118]
	v_fma_f64 v[117:118], v[33:34], s[4:5], v[117:118]
	v_add_f64 v[35:36], v[35:36], v[121:122]
	v_fma_f64 v[119:120], v[33:34], s[16:17], v[119:120]
	v_fma_f64 v[33:34], v[33:34], s[6:7], v[101:102]
	;; [unrolled: 1-line block ×8, first 2 shown]
	v_add_f64 v[35:36], v[35:36], v[77:78]
	v_fma_f64 v[33:34], v[105:106], s[14:15], v[33:34]
	v_fma_f64 v[101:102], v[75:76], s[6:7], v[101:102]
	;; [unrolled: 1-line block ×8, first 2 shown]
	v_mul_f64 v[105:106], v[33:34], s[4:5]
	v_fma_f64 v[93:94], v[107:108], s[14:15], v[101:102]
	v_fma_f64 v[57:58], v[107:108], s[14:15], v[57:58]
	;; [unrolled: 1-line block ×3, first 2 shown]
	v_mul_f64 v[77:78], v[75:76], s[6:7]
	v_mul_f64 v[101:102], v[115:116], s[4:5]
	v_fma_f64 v[39:40], v[89:90], s[14:15], v[73:74]
	v_add_f64 v[16:17], v[35:36], v[16:17]
	v_mul_f64 v[35:36], v[25:26], s[6:7]
	v_mul_f64 v[75:76], v[75:76], s[20:21]
	;; [unrolled: 1-line block ×4, first 2 shown]
	v_fma_f64 v[77:78], v[113:114], s[20:21], v[77:78]
	v_fma_f64 v[89:90], v[93:94], s[14:15], v[101:102]
	v_fma_f64 v[101:102], v[57:58], s[18:19], v[105:106]
	v_mul_f64 v[105:106], v[115:116], s[14:15]
	v_fma_f64 v[35:36], v[39:40], s[22:23], v[35:36]
	v_fma_f64 v[75:76], v[113:114], s[16:17], v[75:76]
	;; [unrolled: 1-line block ×3, first 2 shown]
	v_add_f64 v[39:40], v[2:3], v[109:110]
	v_add_f64 v[113:114], v[123:124], v[87:88]
	;; [unrolled: 1-line block ×3, first 2 shown]
	v_fma_f64 v[33:34], v[57:58], s[10:11], v[33:34]
	v_fma_f64 v[93:94], v[93:94], s[10:11], v[105:106]
	v_add_f64 v[57:58], v[53:54], v[35:36]
	v_add_f64 v[105:106], v[55:56], v[16:17]
	v_add_f64 v[67:68], v[67:68], -v[77:78]
	v_add_f64 v[39:40], v[39:40], v[123:124]
	v_fma_f64 v[77:78], v[113:114], -0.5, v[2:3]
	v_add_f64 v[113:114], v[99:100], -v[14:15]
	v_add_f64 v[35:36], v[53:54], -v[35:36]
	;; [unrolled: 1-line block ×3, first 2 shown]
	v_add_f64 v[16:17], v[109:110], v[31:32]
	v_add_f64 v[111:112], v[103:104], v[89:90]
	;; [unrolled: 1-line block ×4, first 2 shown]
	v_add_f64 v[89:90], v[103:104], -v[89:90]
	v_add_f64 v[29:30], v[29:30], -v[101:102]
	;; [unrolled: 1-line block ×3, first 2 shown]
	v_add_f64 v[39:40], v[39:40], v[87:88]
	v_fma_f64 v[95:96], v[113:114], s[4:5], v[77:78]
	v_add_f64 v[101:102], v[129:130], -v[23:24]
	v_add_f64 v[103:104], v[109:110], -v[123:124]
	;; [unrolled: 1-line block ×3, first 2 shown]
	v_fma_f64 v[2:3], v[16:17], -0.5, v[2:3]
	v_add_f64 v[119:120], v[63:64], v[93:94]
	v_add_f64 v[121:122], v[21:22], v[33:34]
	v_add_f64 v[63:64], v[63:64], -v[93:94]
	v_add_f64 v[93:94], v[21:22], -v[33:34]
	v_add_f64 v[16:17], v[39:40], v[31:32]
	v_fma_f64 v[21:22], v[101:102], s[6:7], v[95:96]
	v_add_f64 v[33:34], v[103:104], v[125:126]
	v_fma_f64 v[39:40], v[113:114], s[10:11], v[77:78]
	v_fma_f64 v[77:78], v[101:102], s[10:11], v[2:3]
	v_add_f64 v[95:96], v[123:124], -v[109:110]
	v_add_f64 v[103:104], v[87:88], -v[31:32]
	v_fma_f64 v[2:3], v[101:102], s[4:5], v[2:3]
	v_add_f64 v[125:126], v[59:60], v[99:100]
	v_add_f64 v[73:74], v[61:62], v[71:72]
	v_add_f64 v[61:62], v[61:62], -v[71:72]
	v_add_f64 v[71:72], v[91:92], v[25:26]
	v_add_f64 v[91:92], v[91:92], -v[25:26]
	v_add_f64 v[25:26], v[129:130], v[23:24]
	v_fma_f64 v[39:40], v[101:102], s[16:17], v[39:40]
	v_fma_f64 v[77:78], v[113:114], s[6:7], v[77:78]
	v_add_f64 v[95:96], v[95:96], v[103:104]
	v_fma_f64 v[2:3], v[113:114], s[16:17], v[2:3]
	v_add_f64 v[101:102], v[99:100], v[14:15]
	v_add_f64 v[103:104], v[125:126], v[129:130]
	v_add_f64 v[31:32], v[109:110], -v[31:32]
	v_fma_f64 v[25:26], v[25:26], -0.5, v[59:60]
	v_fma_f64 v[21:22], v[33:34], s[14:15], v[21:22]
	v_add_f64 v[87:88], v[123:124], -v[87:88]
	v_fma_f64 v[33:34], v[33:34], s[14:15], v[39:40]
	v_add_f64 v[39:40], v[99:100], -v[129:130]
	v_add_f64 v[113:114], v[14:15], -v[23:24]
	v_fma_f64 v[77:78], v[95:96], s[14:15], v[77:78]
	v_fma_f64 v[59:60], v[101:102], -0.5, v[59:60]
	v_fma_f64 v[2:3], v[95:96], s[14:15], v[2:3]
	v_add_f64 v[95:96], v[103:104], v[23:24]
	v_add_f64 v[103:104], v[97:98], v[6:7]
	v_fma_f64 v[109:110], v[31:32], s[10:11], v[25:26]
	v_fma_f64 v[25:26], v[31:32], s[4:5], v[25:26]
	v_add_f64 v[39:40], v[39:40], v[113:114]
	v_add_f64 v[99:100], v[129:130], -v[99:100]
	v_fma_f64 v[113:114], v[87:88], s[4:5], v[59:60]
	v_add_f64 v[23:24], v[23:24], -v[14:15]
	v_fma_f64 v[59:60], v[87:88], s[10:11], v[59:60]
	v_add_f64 v[103:104], v[103:104], v[10:11]
	v_fma_f64 v[101:102], v[87:88], s[16:17], v[109:110]
	v_fma_f64 v[25:26], v[87:88], s[6:7], v[25:26]
	v_add_f64 v[109:110], v[10:11], v[27:28]
	v_add_f64 v[14:15], v[95:96], v[14:15]
	v_fma_f64 v[87:88], v[31:32], s[16:17], v[113:114]
	v_add_f64 v[23:24], v[99:100], v[23:24]
	v_fma_f64 v[31:32], v[31:32], s[6:7], v[59:60]
	v_add_f64 v[59:60], v[103:104], v[27:28]
	v_add_f64 v[103:104], v[6:7], -v[10:11]
	v_add_f64 v[113:114], v[65:66], -v[27:28]
	v_fma_f64 v[95:96], v[39:40], s[14:15], v[101:102]
	v_fma_f64 v[25:26], v[39:40], s[14:15], v[25:26]
	v_fma_f64 v[109:110], v[109:110], -0.5, v[97:98]
	v_fma_f64 v[39:40], v[23:24], s[14:15], v[87:88]
	v_add_f64 v[87:88], v[6:7], v[65:66]
	v_fma_f64 v[23:24], v[23:24], s[14:15], v[31:32]
	v_add_f64 v[31:32], v[59:60], v[65:66]
	v_add_f64 v[59:60], v[8:9], v[19:20]
	v_add_f64 v[103:104], v[103:104], v[113:114]
	v_add_f64 v[113:114], v[4:5], v[69:70]
	v_add_f64 v[123:124], v[4:5], -v[69:70]
	v_add_f64 v[125:126], v[37:38], v[4:5]
	v_fma_f64 v[87:88], v[87:88], -0.5, v[97:98]
	v_add_f64 v[97:98], v[10:11], -v[6:7]
	v_add_f64 v[127:128], v[4:5], -v[8:9]
	v_fma_f64 v[59:60], v[59:60], -0.5, v[37:38]
	v_add_f64 v[10:11], v[10:11], -v[27:28]
	v_fma_f64 v[37:38], v[113:114], -0.5, v[37:38]
	v_add_f64 v[113:114], v[69:70], -v[19:20]
	v_fma_f64 v[99:100], v[123:124], s[4:5], v[109:110]
	v_add_f64 v[101:102], v[8:9], -v[19:20]
	v_fma_f64 v[109:110], v[123:124], s[10:11], v[109:110]
	v_add_f64 v[6:7], v[6:7], -v[65:66]
	v_add_f64 v[125:126], v[125:126], v[8:9]
	v_add_f64 v[4:5], v[8:9], -v[4:5]
	v_add_f64 v[8:9], v[19:20], -v[69:70]
	v_add_f64 v[113:114], v[127:128], v[113:114]
	v_fma_f64 v[127:128], v[10:11], s[4:5], v[37:38]
	v_fma_f64 v[37:38], v[10:11], s[10:11], v[37:38]
	;; [unrolled: 1-line block ×4, first 2 shown]
	v_add_f64 v[27:28], v[27:28], -v[65:66]
	v_fma_f64 v[65:66], v[101:102], s[10:11], v[87:88]
	v_fma_f64 v[87:88], v[101:102], s[4:5], v[87:88]
	;; [unrolled: 1-line block ×5, first 2 shown]
	v_add_f64 v[4:5], v[4:5], v[8:9]
	v_fma_f64 v[6:7], v[6:7], s[6:7], v[37:38]
	v_add_f64 v[27:28], v[97:98], v[27:28]
	v_fma_f64 v[65:66], v[123:124], s[6:7], v[65:66]
	v_fma_f64 v[37:38], v[123:124], s[16:17], v[87:88]
	;; [unrolled: 1-line block ×4, first 2 shown]
	v_add_f64 v[19:20], v[125:126], v[19:20]
	v_fma_f64 v[87:88], v[4:5], s[14:15], v[127:128]
	v_fma_f64 v[4:5], v[4:5], s[14:15], v[6:7]
	v_fma_f64 v[99:100], v[103:104], s[14:15], v[99:100]
	v_fma_f64 v[65:66], v[27:28], s[14:15], v[65:66]
	v_fma_f64 v[27:28], v[27:28], s[14:15], v[37:38]
	v_fma_f64 v[10:11], v[113:114], s[14:15], v[101:102]
	v_fma_f64 v[6:7], v[113:114], s[14:15], v[8:9]
	v_add_f64 v[19:20], v[19:20], v[69:70]
	v_mul_f64 v[69:70], v[87:88], s[4:5]
	v_mul_f64 v[97:98], v[4:5], s[4:5]
	v_fma_f64 v[59:60], v[103:104], s[14:15], v[109:110]
	v_mul_f64 v[4:5], v[4:5], s[18:19]
	v_mul_f64 v[87:88], v[87:88], s[14:15]
	;; [unrolled: 1-line block ×6, first 2 shown]
	v_fma_f64 v[69:70], v[65:66], s[14:15], v[69:70]
	v_fma_f64 v[97:98], v[27:28], s[18:19], v[97:98]
	;; [unrolled: 1-line block ×3, first 2 shown]
	v_add_f64 v[37:38], v[16:17], v[31:32]
	v_fma_f64 v[8:9], v[99:100], s[20:21], v[8:9]
	v_fma_f64 v[101:102], v[59:60], s[22:23], v[101:102]
	;; [unrolled: 1-line block ×4, first 2 shown]
	v_add_f64 v[27:28], v[77:78], v[69:70]
	v_add_f64 v[59:60], v[2:3], v[97:98]
	v_fma_f64 v[65:66], v[65:66], s[10:11], v[87:88]
	v_add_f64 v[16:17], v[16:17], -v[31:32]
	v_add_f64 v[103:104], v[21:22], v[8:9]
	v_add_f64 v[87:88], v[33:34], v[101:102]
	v_add_f64 v[8:9], v[21:22], -v[8:9]
	v_add_f64 v[21:22], v[77:78], -v[69:70]
	;; [unrolled: 1-line block ×4, first 2 shown]
	v_add_f64 v[109:110], v[95:96], v[10:11]
	v_add_f64 v[123:124], v[23:24], v[4:5]
	v_add_f64 v[77:78], v[95:96], -v[10:11]
	v_add_f64 v[95:96], v[23:24], -v[4:5]
	v_mov_b32_e32 v4, 0x1f40
	v_cndmask_b32_e64 v4, 0, v4, s[0:1]
	v_lshlrev_b32_e32 v5, 3, v12
	v_add3_u32 v56, 0, v4, v5
	v_lshlrev_b32_e32 v4, 3, v13
	ds_write2_b64 v56, v[73:74], v[107:108] offset1:100
	v_add_u32_e32 v74, 0x800, v56
	v_add3_u32 v0, 0, v0, v4
	v_add_u32_e32 v73, 0x400, v56
	ds_write2_b64 v74, v[57:58], v[61:62] offset0:144 offset1:244
	v_add_u32_e32 v57, 0x1000, v56
	v_add_u32_e32 v58, 0x1800, v56
	;; [unrolled: 1-line block ×3, first 2 shown]
	ds_write2_b64 v73, v[111:112], v[115:116] offset0:72 offset1:172
	ds_write2_b64 v57, v[67:68], v[89:90] offset0:88 offset1:188
	;; [unrolled: 1-line block ×4, first 2 shown]
	v_add_u32_e32 v59, 0x800, v0
	v_add_u32_e32 v60, 0x1000, v0
	;; [unrolled: 1-line block ×3, first 2 shown]
	v_add_f64 v[99:100], v[14:15], v[19:20]
	v_add_f64 v[125:126], v[25:26], v[6:7]
	v_add_f64 v[69:70], v[14:15], -v[19:20]
	v_add_f64 v[97:98], v[25:26], -v[6:7]
	ds_write2_b64 v0, v[37:38], v[103:104] offset1:100
	ds_write2_b64 v59, v[87:88], v[16:17] offset0:144 offset1:244
	ds_write2_b64 v60, v[8:9], v[21:22] offset0:88 offset1:188
	;; [unrolled: 1-line block ×3, first 2 shown]
	s_waitcnt lgkmcnt(0)
	s_barrier
	ds_read_b64 v[34:35], v47
	ds_read2_b64 v[6:9], v43 offset0:40 offset1:240
	ds_read2_b64 v[2:5], v51 offset0:8 offset1:208
	;; [unrolled: 1-line block ×6, first 2 shown]
	v_add_f64 v[113:114], v[39:40], v[65:66]
	v_add_f64 v[65:66], v[39:40], -v[65:66]
	v_lshl_add_u32 v53, v86, 3, 0
	ds_read_b64 v[36:37], v18
	ds_read_b64 v[40:41], v53
	ds_read2_b64 v[18:21], v52 offset0:40 offset1:240
	ds_read_b64 v[26:27], v49
	ds_read_b64 v[38:39], v48
	ds_read_b64 v[28:29], v47 offset:30400
	s_waitcnt lgkmcnt(0)
	s_barrier
	ds_write2_b64 v56, v[105:106], v[117:118] offset1:100
	ds_write2_b64 v73, v[119:120], v[121:122] offset0:72 offset1:172
	ds_write2_b64 v74, v[71:72], v[54:55] offset0:144 offset1:244
	;; [unrolled: 1-line block ×4, first 2 shown]
	ds_write2_b64 v0, v[99:100], v[109:110] offset1:100
	ds_write2_b64 v61, v[113:114], v[123:124] offset0:72 offset1:172
	ds_write2_b64 v59, v[125:126], v[69:70] offset0:144 offset1:244
	;; [unrolled: 1-line block ×4, first 2 shown]
	s_waitcnt lgkmcnt(0)
	s_barrier
	s_and_saveexec_b64 s[0:1], vcc
	s_cbranch_execz .LBB0_15
; %bb.14:
	v_mul_i32_i24_e32 v0, 3, v85
	v_lshlrev_b64 v[54:55], 4, v[0:1]
	v_mov_b32_e32 v121, s9
	v_add_co_u32_e32 v0, vcc, s8, v54
	v_addc_co_u32_e32 v54, vcc, v121, v55, vcc
	v_add_co_u32_e32 v66, vcc, 0x3de0, v0
	v_addc_co_u32_e32 v67, vcc, 0, v54, vcc
	;; [unrolled: 2-line block ×3, first 2 shown]
	global_load_dwordx4 v[54:57], v[66:67], off offset:32
	global_load_dwordx4 v[58:61], v[66:67], off offset:16
	;; [unrolled: 1-line block ×3, first 2 shown]
	v_mul_i32_i24_e32 v0, 3, v86
	v_lshlrev_b64 v[66:67], 4, v[0:1]
	s_movk_i32 s0, 0x3de0
	v_add_co_u32_e32 v0, vcc, s8, v66
	v_addc_co_u32_e32 v66, vcc, v121, v67, vcc
	v_add_co_u32_e32 v78, vcc, s0, v0
	s_movk_i32 s1, 0x3000
	v_addc_co_u32_e32 v79, vcc, 0, v66, vcc
	v_add_co_u32_e32 v74, vcc, s1, v0
	v_addc_co_u32_e32 v75, vcc, 0, v66, vcc
	global_load_dwordx4 v[66:69], v[74:75], off offset:3552
	global_load_dwordx4 v[70:73], v[78:79], off offset:16
	v_mul_i32_i24_e32 v0, 3, v83
	v_lshlrev_b64 v[74:75], 4, v[0:1]
	v_mul_i32_i24_e32 v122, 0xffffffb8, v84
	v_add_co_u32_e32 v0, vcc, s8, v74
	v_addc_co_u32_e32 v83, vcc, v121, v75, vcc
	v_add_co_u32_e32 v74, vcc, s1, v0
	v_addc_co_u32_e32 v75, vcc, 0, v83, vcc
	global_load_dwordx4 v[74:77], v[74:75], off offset:3552
	ds_read2_b64 v[85:88], v52 offset0:40 offset1:240
	ds_read2_b64 v[89:92], v51 offset0:8 offset1:208
	;; [unrolled: 1-line block ×3, first 2 shown]
	global_load_dwordx4 v[97:100], v[78:79], off offset:32
	v_add_co_u32_e32 v105, vcc, s0, v0
	ds_read_b64 v[51:52], v49
	ds_read_b64 v[78:79], v48
	ds_read_b64 v[109:110], v47 offset:30400
	ds_read_b64 v[111:112], v47
	v_mul_u32_u24_e32 v47, 3, v82
	v_addc_co_u32_e32 v106, vcc, 0, v83, vcc
	v_lshlrev_b32_e32 v123, 4, v47
	global_load_dwordx4 v[47:50], v[105:106], off offset:32
	global_load_dwordx4 v[101:104], v[105:106], off offset:16
	v_mul_i32_i24_e32 v0, 3, v84
	v_lshlrev_b64 v[0:1], 4, v[0:1]
	v_add_u32_e32 v42, v42, v122
	v_add_co_u32_e32 v105, vcc, s8, v0
	v_addc_co_u32_e32 v106, vcc, v121, v1, vcc
	v_add_co_u32_e32 v0, vcc, s0, v105
	v_addc_co_u32_e32 v1, vcc, 0, v106, vcc
	;; [unrolled: 2-line block ×3, first 2 shown]
	global_load_dwordx4 v[105:108], v[105:106], off offset:3552
	s_waitcnt vmcnt(9)
	v_mul_f64 v[113:114], v[28:29], v[54:55]
	s_waitcnt vmcnt(8)
	v_mul_f64 v[83:84], v[20:21], v[60:61]
	s_waitcnt lgkmcnt(6)
	v_mul_f64 v[60:61], v[87:88], v[60:61]
	v_mul_f64 v[28:29], v[28:29], v[56:57]
	s_waitcnt vmcnt(7)
	v_mul_f64 v[115:116], v[2:3], v[62:63]
	v_mul_f64 v[2:3], v[2:3], v[64:65]
	v_fma_f64 v[83:84], v[87:88], v[58:59], -v[83:84]
	v_fma_f64 v[20:21], v[20:21], v[58:59], v[60:61]
	s_waitcnt lgkmcnt(1)
	v_fma_f64 v[28:29], v[109:110], v[54:55], -v[28:29]
	v_fma_f64 v[87:88], v[109:110], v[56:57], v[113:114]
	v_fma_f64 v[62:63], v[89:90], v[62:63], -v[2:3]
	v_fma_f64 v[64:65], v[89:90], v[64:65], v[115:116]
	global_load_dwordx4 v[54:57], v[0:1], off offset:32
	global_load_dwordx4 v[58:61], v[0:1], off offset:16
	v_add_f64 v[109:110], v[51:52], -v[83:84]
	v_add_f64 v[113:114], v[26:27], -v[20:21]
	s_waitcnt vmcnt(7)
	v_mul_f64 v[0:1], v[18:19], v[72:73]
	v_mul_f64 v[2:3], v[85:86], v[72:73]
	v_add_f64 v[28:29], v[62:63], -v[28:29]
	v_add_f64 v[20:21], v[64:65], -v[87:88]
	v_mul_f64 v[89:90], v[16:17], v[66:67]
	v_mul_f64 v[87:88], v[16:17], v[68:69]
	v_fma_f64 v[51:52], v[51:52], 2.0, -v[109:110]
	v_fma_f64 v[26:27], v[26:27], 2.0, -v[113:114]
	v_fma_f64 v[115:116], v[85:86], v[70:71], -v[0:1]
	v_fma_f64 v[119:120], v[18:19], v[70:71], v[2:3]
	v_add_f64 v[0:1], v[113:114], v[28:29]
	v_fma_f64 v[16:17], v[62:63], 2.0, -v[28:29]
	v_add_co_u32_e32 v28, vcc, s8, v123
	v_addc_co_u32_e32 v29, vcc, 0, v121, vcc
	v_add_f64 v[2:3], v[109:110], -v[20:21]
	v_fma_f64 v[18:19], v[64:65], 2.0, -v[20:21]
	v_add_co_u32_e32 v20, vcc, s0, v28
	v_addc_co_u32_e32 v21, vcc, 0, v29, vcc
	v_add_co_u32_e32 v28, vcc, s1, v28
	v_addc_co_u32_e32 v29, vcc, 0, v29, vcc
	global_load_dwordx4 v[62:65], v[20:21], off offset:16
	global_load_dwordx4 v[70:73], v[28:29], off offset:3552
	;; [unrolled: 1-line block ×3, first 2 shown]
	s_waitcnt vmcnt(9)
	v_mul_f64 v[117:118], v[14:15], v[74:75]
	v_mul_f64 v[20:21], v[14:15], v[76:77]
	v_add_f64 v[16:17], v[51:52], -v[16:17]
	v_fma_f64 v[89:90], v[95:96], v[68:69], v[89:90]
	v_fma_f64 v[87:88], v[95:96], v[66:67], -v[87:88]
	s_waitcnt vmcnt(8)
	v_mul_f64 v[95:96], v[32:33], v[99:100]
	v_mul_f64 v[32:33], v[32:33], v[97:98]
	ds_read2_b64 v[66:69], v46 offset0:8 offset1:208
	v_fma_f64 v[117:118], v[93:94], v[76:77], v[117:118]
	v_fma_f64 v[93:94], v[93:94], v[74:75], -v[20:21]
	ds_read2_b64 v[74:77], v45 offset0:24 offset1:224
	ds_read_b64 v[45:46], v53
	v_fma_f64 v[28:29], v[51:52], 2.0, -v[16:17]
	v_add_f64 v[14:15], v[26:27], -v[18:19]
	s_waitcnt lgkmcnt(2)
	v_fma_f64 v[51:52], v[68:69], v[97:98], -v[95:96]
	v_fma_f64 v[32:33], v[68:69], v[99:100], v[32:33]
	s_waitcnt vmcnt(7)
	v_mul_f64 v[95:96], v[30:31], v[49:50]
	s_waitcnt vmcnt(6) lgkmcnt(1)
	v_mul_f64 v[97:98], v[76:77], v[103:104]
	v_mul_f64 v[30:31], v[30:31], v[47:48]
	;; [unrolled: 1-line block ×3, first 2 shown]
	s_waitcnt lgkmcnt(0)
	v_add_f64 v[99:100], v[45:46], -v[115:116]
	v_add_f64 v[103:104], v[40:41], -v[119:120]
	;; [unrolled: 1-line block ×4, first 2 shown]
	v_fma_f64 v[47:48], v[66:67], v[47:48], -v[95:96]
	v_fma_f64 v[24:25], v[24:25], v[101:102], v[97:98]
	v_fma_f64 v[30:31], v[66:67], v[49:50], v[30:31]
	v_fma_f64 v[68:69], v[76:77], v[101:102], -v[68:69]
	v_fma_f64 v[49:50], v[45:46], 2.0, -v[99:100]
	v_fma_f64 v[66:67], v[40:41], 2.0, -v[103:104]
	;; [unrolled: 1-line block ×4, first 2 shown]
	v_add_f64 v[32:33], v[99:100], -v[32:33]
	v_add_f64 v[101:102], v[38:39], -v[24:25]
	;; [unrolled: 1-line block ×4, first 2 shown]
	v_add_f64 v[30:31], v[103:104], v[51:52]
	v_fma_f64 v[18:19], v[113:114], 2.0, -v[0:1]
	v_add_f64 v[76:77], v[93:94], -v[47:48]
	v_add_f64 v[47:48], v[49:50], -v[45:46]
	;; [unrolled: 1-line block ×3, first 2 shown]
	v_fma_f64 v[113:114], v[38:39], 2.0, -v[101:102]
	v_fma_f64 v[87:88], v[117:118], 2.0, -v[24:25]
	v_add_f64 v[68:69], v[97:98], -v[24:25]
	v_fma_f64 v[40:41], v[99:100], 2.0, -v[32:33]
	v_fma_f64 v[38:39], v[103:104], 2.0, -v[30:31]
	s_waitcnt vmcnt(5)
	v_mul_f64 v[99:100], v[8:9], v[105:106]
	v_mul_f64 v[8:9], v[8:9], v[107:108]
	v_fma_f64 v[20:21], v[109:110], 2.0, -v[2:3]
	s_waitcnt vmcnt(4)
	v_mul_f64 v[103:104], v[12:13], v[54:55]
	s_waitcnt vmcnt(3)
	v_mul_f64 v[24:25], v[22:23], v[60:61]
	v_mul_f64 v[60:61], v[74:75], v[60:61]
	;; [unrolled: 1-line block ×3, first 2 shown]
	v_fma_f64 v[109:110], v[78:79], 2.0, -v[97:98]
	v_fma_f64 v[78:79], v[93:94], 2.0, -v[76:77]
	;; [unrolled: 1-line block ×4, first 2 shown]
	v_add_f64 v[66:67], v[101:102], v[76:77]
	v_add_f64 v[76:77], v[113:114], -v[87:88]
	ds_read2_b64 v[87:90], v43 offset0:40 offset1:240
	ds_read2_b64 v[93:96], v44 offset0:24 offset1:224
	v_fma_f64 v[60:61], v[22:23], v[58:59], v[60:61]
	v_fma_f64 v[74:75], v[74:75], v[58:59], -v[24:25]
	ds_read_b64 v[42:43], v42
	s_waitcnt lgkmcnt(2)
	v_fma_f64 v[8:9], v[89:90], v[105:106], -v[8:9]
	s_waitcnt lgkmcnt(1)
	v_fma_f64 v[12:13], v[95:96], v[54:55], -v[12:13]
	v_fma_f64 v[99:100], v[89:90], v[107:108], v[99:100]
	v_fma_f64 v[103:104], v[95:96], v[56:57], v[103:104]
	v_fma_f64 v[22:23], v[101:102], 2.0, -v[66:67]
	v_add_f64 v[53:54], v[36:37], -v[60:61]
	s_waitcnt lgkmcnt(0)
	v_add_f64 v[74:75], v[42:43], -v[74:75]
	v_fma_f64 v[24:25], v[97:98], 2.0, -v[68:69]
	v_add_co_u32_e32 v55, vcc, s12, v80
	v_add_f64 v[12:13], v[8:9], -v[12:13]
	v_add_f64 v[97:98], v[99:100], -v[103:104]
	v_add_u32_e32 v44, 0x3e8, v82
	v_add_f64 v[78:79], v[109:110], -v[78:79]
	v_fma_f64 v[42:43], v[42:43], 2.0, -v[74:75]
	s_waitcnt vmcnt(2)
	v_mul_f64 v[60:61], v[4:5], v[64:65]
	s_waitcnt vmcnt(1)
	v_mul_f64 v[89:90], v[6:7], v[72:73]
	s_waitcnt vmcnt(0)
	v_mul_f64 v[95:96], v[10:11], v[85:86]
	v_mul_f64 v[101:102], v[6:7], v[70:71]
	v_mul_f64 v[64:65], v[91:92], v[64:65]
	;; [unrolled: 1-line block ×3, first 2 shown]
	v_fma_f64 v[8:9], v[8:9], 2.0, -v[12:13]
	v_add_f64 v[6:7], v[74:75], -v[97:98]
	v_fma_f64 v[60:61], v[91:92], v[62:63], -v[60:61]
	v_fma_f64 v[70:71], v[87:88], v[70:71], -v[89:90]
	;; [unrolled: 1-line block ×3, first 2 shown]
	v_fma_f64 v[72:73], v[87:88], v[72:73], v[101:102]
	v_fma_f64 v[62:63], v[4:5], v[62:63], v[64:65]
	;; [unrolled: 1-line block ×3, first 2 shown]
	v_add_f64 v[4:5], v[53:54], v[12:13]
	v_fma_f64 v[64:65], v[36:37], 2.0, -v[53:54]
	v_add_f64 v[12:13], v[111:112], -v[60:61]
	v_add_f64 v[36:37], v[42:43], -v[8:9]
	;; [unrolled: 1-line block ×3, first 2 shown]
	v_fma_f64 v[83:84], v[99:100], 2.0, -v[97:98]
	v_add_f64 v[87:88], v[34:35], -v[62:63]
	v_add_f64 v[62:63], v[72:73], -v[10:11]
	v_fma_f64 v[10:11], v[74:75], 2.0, -v[6:7]
	v_fma_f64 v[8:9], v[53:54], 2.0, -v[4:5]
	;; [unrolled: 1-line block ×8, first 2 shown]
	v_add_f64 v[62:63], v[12:13], -v[62:63]
	v_fma_f64 v[72:73], v[42:43], 2.0, -v[36:37]
	v_mad_u64_u32 v[42:43], s[0:1], s2, v82, 0
	v_add_f64 v[34:35], v[64:65], -v[83:84]
	v_add_f64 v[85:86], v[74:75], -v[70:71]
	v_add_f64 v[60:61], v[87:88], v[60:61]
	v_add_f64 v[83:84], v[53:54], -v[89:90]
	v_fma_f64 v[89:90], v[12:13], 2.0, -v[62:63]
	v_mov_b32_e32 v12, v43
	v_mad_u64_u32 v[12:13], s[0:1], s3, v82, v[12:13]
	v_fma_f64 v[70:71], v[64:65], 2.0, -v[34:35]
	v_fma_f64 v[93:94], v[74:75], 2.0, -v[85:86]
	v_mov_b32_e32 v43, v12
	v_mov_b32_e32 v12, s13
	v_addc_co_u32_e32 v64, vcc, v12, v81, vcc
	v_lshlrev_b64 v[12:13], 4, v[42:43]
	v_mad_u64_u32 v[42:43], s[0:1], s2, v44, 0
	v_fma_f64 v[91:92], v[53:54], 2.0, -v[83:84]
	v_fma_f64 v[87:88], v[87:88], 2.0, -v[60:61]
	v_mad_u64_u32 v[43:44], s[0:1], s3, v44, v[43:44]
	v_add_u32_e32 v44, 0x7d0, v82
	v_mad_u64_u32 v[53:54], s[0:1], s2, v44, 0
	v_add_co_u32_e32 v12, vcc, v55, v12
	v_addc_co_u32_e32 v13, vcc, v64, v13, vcc
	global_store_dwordx4 v[12:13], v[91:94], off
	v_lshlrev_b64 v[12:13], 4, v[42:43]
	v_mov_b32_e32 v42, v54
	v_mad_u64_u32 v[42:43], s[0:1], s3, v44, v[42:43]
	v_add_co_u32_e32 v12, vcc, v55, v12
	v_addc_co_u32_e32 v13, vcc, v64, v13, vcc
	v_mov_b32_e32 v54, v42
	v_add_u32_e32 v44, 0xbb8, v82
	global_store_dwordx4 v[12:13], v[87:90], off
	v_lshlrev_b64 v[12:13], 4, v[53:54]
	v_mad_u64_u32 v[42:43], s[0:1], s2, v44, 0
	v_add_co_u32_e32 v12, vcc, v55, v12
	v_addc_co_u32_e32 v13, vcc, v64, v13, vcc
	global_store_dwordx4 v[12:13], v[83:86], off
	v_mov_b32_e32 v12, v43
	v_mad_u64_u32 v[12:13], s[0:1], s3, v44, v[12:13]
	v_add_u32_e32 v44, 0xc8, v82
	v_mad_u64_u32 v[53:54], s[0:1], s2, v44, 0
	v_mov_b32_e32 v43, v12
	v_lshlrev_b64 v[12:13], 4, v[42:43]
	v_mov_b32_e32 v42, v54
	v_mad_u64_u32 v[42:43], s[4:5], s3, v44, v[42:43]
	v_add_u32_e32 v44, 0x4b0, v82
	v_add_co_u32_e32 v12, vcc, v55, v12
	v_mov_b32_e32 v54, v42
	v_mad_u64_u32 v[42:43], s[4:5], s2, v44, 0
	v_addc_co_u32_e32 v13, vcc, v64, v13, vcc
	global_store_dwordx4 v[12:13], v[60:63], off
	v_lshlrev_b64 v[12:13], 4, v[53:54]
	v_mad_u64_u32 v[43:44], s[4:5], s3, v44, v[43:44]
	v_add_u32_e32 v44, 0x898, v82
	v_add_co_u32_e32 v12, vcc, v55, v12
	v_mad_u64_u32 v[53:54], s[4:5], s2, v44, 0
	v_addc_co_u32_e32 v13, vcc, v64, v13, vcc
	global_store_dwordx4 v[12:13], v[70:73], off
	v_lshlrev_b64 v[12:13], 4, v[42:43]
	v_mov_b32_e32 v42, v54
	v_add_co_u32_e32 v12, vcc, v55, v12
	v_mad_u64_u32 v[42:43], s[4:5], s3, v44, v[42:43]
	v_addc_co_u32_e32 v13, vcc, v64, v13, vcc
	global_store_dwordx4 v[12:13], v[8:11], off
	v_add_u32_e32 v12, 0xc80, v82
	v_mad_u64_u32 v[10:11], s[4:5], s2, v12, 0
	v_add_u32_e32 v13, 0x190, v82
	s_mov_b32 s1, 0x10624dd3
	v_mov_b32_e32 v54, v42
	v_mul_hi_u32 v42, v13, s1
	v_lshlrev_b64 v[8:9], 4, v[53:54]
	v_mad_u64_u32 v[11:12], s[4:5], s3, v12, v[11:12]
	s_movk_i32 s0, 0xbb8
	v_add_co_u32_e32 v8, vcc, v55, v8
	v_lshrrev_b32_e32 v12, 6, v42
	v_addc_co_u32_e32 v9, vcc, v64, v9, vcc
	v_mad_u32_u24 v42, v12, s0, v13
	v_mad_u64_u32 v[12:13], s[4:5], s2, v42, 0
	global_store_dwordx4 v[8:9], v[34:37], off
	v_lshlrev_b64 v[8:9], 4, v[10:11]
	v_mov_b32_e32 v10, v13
	v_add_co_u32_e32 v8, vcc, v55, v8
	v_addc_co_u32_e32 v9, vcc, v64, v9, vcc
	global_store_dwordx4 v[8:9], v[4:7], off
	v_add_u32_e32 v8, 0x3e8, v42
	v_mad_u64_u32 v[10:11], s[4:5], s3, v42, v[10:11]
	v_mad_u64_u32 v[6:7], s[4:5], s2, v8, 0
	v_mov_b32_e32 v13, v10
	v_add_u32_e32 v10, 0x7d0, v42
	v_mad_u64_u32 v[7:8], s[4:5], s3, v8, v[7:8]
	v_lshlrev_b64 v[4:5], 4, v[12:13]
	v_mad_u64_u32 v[8:9], s[4:5], s2, v10, 0
	v_add_co_u32_e32 v4, vcc, v55, v4
	v_addc_co_u32_e32 v5, vcc, v64, v5, vcc
	global_store_dwordx4 v[4:5], v[56:59], off
	v_lshlrev_b64 v[4:5], 4, v[6:7]
	v_mov_b32_e32 v6, v9
	v_mad_u64_u32 v[6:7], s[4:5], s3, v10, v[6:7]
	v_add_co_u32_e32 v4, vcc, v55, v4
	v_addc_co_u32_e32 v5, vcc, v64, v5, vcc
	v_mov_b32_e32 v9, v6
	global_store_dwordx4 v[4:5], v[22:25], off
	v_lshlrev_b64 v[4:5], 4, v[8:9]
	v_add_u32_e32 v8, 0xbb8, v42
	v_mad_u64_u32 v[6:7], s[4:5], s2, v8, 0
	v_add_u32_e32 v9, 0x258, v82
	v_mul_hi_u32 v10, v9, s1
	v_mad_u64_u32 v[7:8], s[4:5], s3, v8, v[7:8]
	v_add_co_u32_e32 v4, vcc, v55, v4
	v_lshrrev_b32_e32 v8, 6, v10
	v_mad_u32_u24 v10, v8, s0, v9
	v_mad_u64_u32 v[8:9], s[4:5], s2, v10, 0
	v_addc_co_u32_e32 v5, vcc, v64, v5, vcc
	global_store_dwordx4 v[4:5], v[76:79], off
	v_lshlrev_b64 v[4:5], 4, v[6:7]
	v_mov_b32_e32 v6, v9
	v_mad_u64_u32 v[6:7], s[4:5], s3, v10, v[6:7]
	v_add_co_u32_e32 v4, vcc, v55, v4
	v_addc_co_u32_e32 v5, vcc, v64, v5, vcc
	v_mov_b32_e32 v9, v6
	global_store_dwordx4 v[4:5], v[66:69], off
	v_lshlrev_b64 v[4:5], 4, v[8:9]
	v_add_u32_e32 v8, 0x3e8, v10
	v_mad_u64_u32 v[6:7], s[4:5], s2, v8, 0
	v_add_u32_e32 v11, 0x7d0, v10
	v_add_co_u32_e32 v4, vcc, v55, v4
	v_mad_u64_u32 v[7:8], s[4:5], s3, v8, v[7:8]
	v_mad_u64_u32 v[8:9], s[4:5], s2, v11, 0
	v_addc_co_u32_e32 v5, vcc, v64, v5, vcc
	global_store_dwordx4 v[4:5], v[49:52], off
	v_lshlrev_b64 v[4:5], 4, v[6:7]
	v_mov_b32_e32 v6, v9
	v_mad_u64_u32 v[6:7], s[4:5], s3, v11, v[6:7]
	v_add_co_u32_e32 v4, vcc, v55, v4
	v_addc_co_u32_e32 v5, vcc, v64, v5, vcc
	v_mov_b32_e32 v9, v6
	global_store_dwordx4 v[4:5], v[38:41], off
	v_lshlrev_b64 v[4:5], 4, v[8:9]
	v_add_u32_e32 v8, 0xbb8, v10
	v_mad_u64_u32 v[6:7], s[4:5], s2, v8, 0
	v_add_co_u32_e32 v4, vcc, v55, v4
	v_mad_u64_u32 v[7:8], s[4:5], s3, v8, v[7:8]
	v_add_u32_e32 v8, 0x320, v82
	v_mul_hi_u32 v9, v8, s1
	v_addc_co_u32_e32 v5, vcc, v64, v5, vcc
	global_store_dwordx4 v[4:5], v[45:48], off
	v_lshlrev_b64 v[4:5], 4, v[6:7]
	v_lshrrev_b32_e32 v6, 6, v9
	v_mad_u32_u24 v10, v6, s0, v8
	v_mad_u64_u32 v[6:7], s[0:1], s2, v10, 0
	v_add_u32_e32 v11, 0x3e8, v10
	v_fma_f64 v[26:27], v[26:27], 2.0, -v[14:15]
	v_mad_u64_u32 v[7:8], s[0:1], s3, v10, v[7:8]
	v_mad_u64_u32 v[8:9], s[0:1], s2, v11, 0
	v_add_co_u32_e32 v4, vcc, v55, v4
	v_addc_co_u32_e32 v5, vcc, v64, v5, vcc
	global_store_dwordx4 v[4:5], v[30:33], off
	v_lshlrev_b64 v[4:5], 4, v[6:7]
	v_mov_b32_e32 v6, v9
	v_mad_u64_u32 v[6:7], s[0:1], s3, v11, v[6:7]
	v_add_co_u32_e32 v4, vcc, v55, v4
	v_addc_co_u32_e32 v5, vcc, v64, v5, vcc
	v_mov_b32_e32 v9, v6
	global_store_dwordx4 v[4:5], v[26:29], off
	v_lshlrev_b64 v[4:5], 4, v[8:9]
	v_add_u32_e32 v8, 0x7d0, v10
	v_mad_u64_u32 v[6:7], s[0:1], s2, v8, 0
	v_add_u32_e32 v10, 0xbb8, v10
	v_add_co_u32_e32 v4, vcc, v55, v4
	v_mad_u64_u32 v[7:8], s[0:1], s3, v8, v[7:8]
	v_mad_u64_u32 v[8:9], s[0:1], s2, v10, 0
	v_addc_co_u32_e32 v5, vcc, v64, v5, vcc
	global_store_dwordx4 v[4:5], v[18:21], off
	v_lshlrev_b64 v[4:5], 4, v[6:7]
	v_mov_b32_e32 v6, v9
	v_mad_u64_u32 v[6:7], s[0:1], s3, v10, v[6:7]
	v_add_co_u32_e32 v4, vcc, v55, v4
	v_addc_co_u32_e32 v5, vcc, v64, v5, vcc
	v_mov_b32_e32 v9, v6
	global_store_dwordx4 v[4:5], v[14:17], off
	v_lshlrev_b64 v[4:5], 4, v[8:9]
	v_add_co_u32_e32 v4, vcc, v55, v4
	v_addc_co_u32_e32 v5, vcc, v64, v5, vcc
	global_store_dwordx4 v[4:5], v[0:3], off
.LBB0_15:
	s_endpgm
	.section	.rodata,"a",@progbits
	.p2align	6, 0x0
	.amdhsa_kernel fft_rtc_back_len4000_factors_10_10_10_4_wgs_200_tpt_200_halfLds_dp_ip_CI_sbrr_dirReg
		.amdhsa_group_segment_fixed_size 0
		.amdhsa_private_segment_fixed_size 0
		.amdhsa_kernarg_size 88
		.amdhsa_user_sgpr_count 6
		.amdhsa_user_sgpr_private_segment_buffer 1
		.amdhsa_user_sgpr_dispatch_ptr 0
		.amdhsa_user_sgpr_queue_ptr 0
		.amdhsa_user_sgpr_kernarg_segment_ptr 1
		.amdhsa_user_sgpr_dispatch_id 0
		.amdhsa_user_sgpr_flat_scratch_init 0
		.amdhsa_user_sgpr_private_segment_size 0
		.amdhsa_uses_dynamic_stack 0
		.amdhsa_system_sgpr_private_segment_wavefront_offset 0
		.amdhsa_system_sgpr_workgroup_id_x 1
		.amdhsa_system_sgpr_workgroup_id_y 0
		.amdhsa_system_sgpr_workgroup_id_z 0
		.amdhsa_system_sgpr_workgroup_info 0
		.amdhsa_system_vgpr_workitem_id 0
		.amdhsa_next_free_vgpr 131
		.amdhsa_next_free_sgpr 24
		.amdhsa_reserve_vcc 1
		.amdhsa_reserve_flat_scratch 0
		.amdhsa_float_round_mode_32 0
		.amdhsa_float_round_mode_16_64 0
		.amdhsa_float_denorm_mode_32 3
		.amdhsa_float_denorm_mode_16_64 3
		.amdhsa_dx10_clamp 1
		.amdhsa_ieee_mode 1
		.amdhsa_fp16_overflow 0
		.amdhsa_exception_fp_ieee_invalid_op 0
		.amdhsa_exception_fp_denorm_src 0
		.amdhsa_exception_fp_ieee_div_zero 0
		.amdhsa_exception_fp_ieee_overflow 0
		.amdhsa_exception_fp_ieee_underflow 0
		.amdhsa_exception_fp_ieee_inexact 0
		.amdhsa_exception_int_div_zero 0
	.end_amdhsa_kernel
	.text
.Lfunc_end0:
	.size	fft_rtc_back_len4000_factors_10_10_10_4_wgs_200_tpt_200_halfLds_dp_ip_CI_sbrr_dirReg, .Lfunc_end0-fft_rtc_back_len4000_factors_10_10_10_4_wgs_200_tpt_200_halfLds_dp_ip_CI_sbrr_dirReg
                                        ; -- End function
	.section	.AMDGPU.csdata,"",@progbits
; Kernel info:
; codeLenInByte = 15560
; NumSgprs: 28
; NumVgprs: 131
; ScratchSize: 0
; MemoryBound: 1
; FloatMode: 240
; IeeeMode: 1
; LDSByteSize: 0 bytes/workgroup (compile time only)
; SGPRBlocks: 3
; VGPRBlocks: 32
; NumSGPRsForWavesPerEU: 28
; NumVGPRsForWavesPerEU: 131
; Occupancy: 1
; WaveLimiterHint : 1
; COMPUTE_PGM_RSRC2:SCRATCH_EN: 0
; COMPUTE_PGM_RSRC2:USER_SGPR: 6
; COMPUTE_PGM_RSRC2:TRAP_HANDLER: 0
; COMPUTE_PGM_RSRC2:TGID_X_EN: 1
; COMPUTE_PGM_RSRC2:TGID_Y_EN: 0
; COMPUTE_PGM_RSRC2:TGID_Z_EN: 0
; COMPUTE_PGM_RSRC2:TIDIG_COMP_CNT: 0
	.type	__hip_cuid_57c3dbe807ee360a,@object ; @__hip_cuid_57c3dbe807ee360a
	.section	.bss,"aw",@nobits
	.globl	__hip_cuid_57c3dbe807ee360a
__hip_cuid_57c3dbe807ee360a:
	.byte	0                               ; 0x0
	.size	__hip_cuid_57c3dbe807ee360a, 1

	.ident	"AMD clang version 19.0.0git (https://github.com/RadeonOpenCompute/llvm-project roc-6.4.0 25133 c7fe45cf4b819c5991fe208aaa96edf142730f1d)"
	.section	".note.GNU-stack","",@progbits
	.addrsig
	.addrsig_sym __hip_cuid_57c3dbe807ee360a
	.amdgpu_metadata
---
amdhsa.kernels:
  - .args:
      - .actual_access:  read_only
        .address_space:  global
        .offset:         0
        .size:           8
        .value_kind:     global_buffer
      - .offset:         8
        .size:           8
        .value_kind:     by_value
      - .actual_access:  read_only
        .address_space:  global
        .offset:         16
        .size:           8
        .value_kind:     global_buffer
      - .actual_access:  read_only
        .address_space:  global
        .offset:         24
        .size:           8
        .value_kind:     global_buffer
      - .offset:         32
        .size:           8
        .value_kind:     by_value
      - .actual_access:  read_only
        .address_space:  global
        .offset:         40
        .size:           8
        .value_kind:     global_buffer
      - .actual_access:  read_only
        .address_space:  global
        .offset:         48
        .size:           8
        .value_kind:     global_buffer
      - .offset:         56
        .size:           4
        .value_kind:     by_value
      - .actual_access:  read_only
        .address_space:  global
        .offset:         64
        .size:           8
        .value_kind:     global_buffer
      - .actual_access:  read_only
        .address_space:  global
        .offset:         72
        .size:           8
        .value_kind:     global_buffer
      - .address_space:  global
        .offset:         80
        .size:           8
        .value_kind:     global_buffer
    .group_segment_fixed_size: 0
    .kernarg_segment_align: 8
    .kernarg_segment_size: 88
    .language:       OpenCL C
    .language_version:
      - 2
      - 0
    .max_flat_workgroup_size: 200
    .name:           fft_rtc_back_len4000_factors_10_10_10_4_wgs_200_tpt_200_halfLds_dp_ip_CI_sbrr_dirReg
    .private_segment_fixed_size: 0
    .sgpr_count:     28
    .sgpr_spill_count: 0
    .symbol:         fft_rtc_back_len4000_factors_10_10_10_4_wgs_200_tpt_200_halfLds_dp_ip_CI_sbrr_dirReg.kd
    .uniform_work_group_size: 1
    .uses_dynamic_stack: false
    .vgpr_count:     131
    .vgpr_spill_count: 0
    .wavefront_size: 64
amdhsa.target:   amdgcn-amd-amdhsa--gfx906
amdhsa.version:
  - 1
  - 2
...

	.end_amdgpu_metadata
